;; amdgpu-corpus repo=ROCm/rocFFT kind=compiled arch=gfx1030 opt=O3
	.text
	.amdgcn_target "amdgcn-amd-amdhsa--gfx1030"
	.amdhsa_code_object_version 6
	.protected	bluestein_single_fwd_len884_dim1_sp_op_CI_CI ; -- Begin function bluestein_single_fwd_len884_dim1_sp_op_CI_CI
	.globl	bluestein_single_fwd_len884_dim1_sp_op_CI_CI
	.p2align	8
	.type	bluestein_single_fwd_len884_dim1_sp_op_CI_CI,@function
bluestein_single_fwd_len884_dim1_sp_op_CI_CI: ; @bluestein_single_fwd_len884_dim1_sp_op_CI_CI
; %bb.0:
	s_load_dwordx4 s[12:15], s[4:5], 0x28
	v_mul_u32_u24_e32 v1, 0x3c4, v0
	s_mov_b64 s[22:23], s[2:3]
	s_mov_b64 s[20:21], s[0:1]
	s_add_u32 s20, s20, s7
	v_lshrrev_b32_e32 v1, 16, v1
	s_addc_u32 s21, s21, 0
	v_mad_u64_u32 v[80:81], null, s6, 3, v[1:2]
	v_mov_b32_e32 v81, 0
                                        ; kill: def $vgpr2 killed $sgpr0 killed $exec
	s_mov_b32 s0, exec_lo
	s_waitcnt lgkmcnt(0)
	v_cmpx_gt_u64_e64 s[12:13], v[80:81]
	s_cbranch_execz .LBB0_18
; %bb.1:
	s_clause 0x1
	s_load_dwordx4 s[8:11], s[4:5], 0x18
	s_load_dwordx4 s[0:3], s[4:5], 0x0
	v_mul_lo_u16 v1, 0x44, v1
	s_load_dwordx2 s[4:5], s[4:5], 0x38
	v_sub_nc_u16 v26, v0, v1
	v_and_b32_e32 v119, 0xffff, v26
	v_lshlrev_b32_e32 v29, 3, v119
	s_waitcnt lgkmcnt(0)
	s_load_dwordx4 s[16:19], s[8:9], 0x0
	s_clause 0x3
	global_load_dwordx2 v[97:98], v29, s[0:1]
	global_load_dwordx2 v[99:100], v29, s[0:1] offset:544
	global_load_dwordx2 v[95:96], v29, s[0:1] offset:1088
	;; [unrolled: 1-line block ×3, first 2 shown]
	v_add_co_u32 v122, s6, s0, v29
	v_add_co_ci_u32_e64 v123, null, s1, 0, s6
	s_waitcnt lgkmcnt(0)
	v_mad_u64_u32 v[0:1], null, s18, v80, 0
	v_mad_u64_u32 v[2:3], null, s16, v119, 0
	s_mul_i32 s0, s17, 0x220
	s_mul_hi_u32 s1, s16, 0x220
	s_mul_i32 s6, s16, 0x220
	s_add_i32 s1, s1, s0
	v_mad_u64_u32 v[4:5], null, s19, v80, v[1:2]
	v_mad_u64_u32 v[5:6], null, s17, v119, v[3:4]
	v_mov_b32_e32 v1, v4
	v_add_co_u32 v6, vcc_lo, 0x800, v122
	v_add_co_ci_u32_e32 v7, vcc_lo, 0, v123, vcc_lo
	v_add_co_u32 v8, vcc_lo, 0x1000, v122
	v_mov_b32_e32 v3, v5
	v_lshlrev_b64 v[0:1], 3, v[0:1]
	v_add_co_ci_u32_e32 v9, vcc_lo, 0, v123, vcc_lo
	v_add_co_u32 v107, vcc_lo, 0x1800, v122
	v_add_co_ci_u32_e32 v108, vcc_lo, 0, v123, vcc_lo
	v_lshlrev_b64 v[2:3], 3, v[2:3]
	v_add_co_u32 v0, vcc_lo, s14, v0
	v_add_co_ci_u32_e32 v1, vcc_lo, s15, v1, vcc_lo
	s_clause 0x3
	global_load_dwordx2 v[105:106], v[6:7], off offset:128
	global_load_dwordx2 v[103:104], v[6:7], off offset:672
	;; [unrolled: 1-line block ×4, first 2 shown]
	v_add_co_u32 v0, vcc_lo, v0, v2
	v_add_co_ci_u32_e32 v1, vcc_lo, v1, v3, vcc_lo
	s_clause 0x2
	global_load_dwordx2 v[89:90], v[8:9], off offset:256
	global_load_dwordx2 v[87:88], v[8:9], off offset:800
	;; [unrolled: 1-line block ×3, first 2 shown]
	v_add_co_u32 v2, vcc_lo, v0, s6
	v_add_co_ci_u32_e32 v3, vcc_lo, s1, v1, vcc_lo
	global_load_dwordx2 v[0:1], v[0:1], off
	v_add_co_u32 v4, vcc_lo, v2, s6
	v_add_co_ci_u32_e32 v5, vcc_lo, s1, v3, vcc_lo
	global_load_dwordx2 v[2:3], v[2:3], off
	v_add_co_u32 v6, vcc_lo, v4, s6
	v_add_co_ci_u32_e32 v7, vcc_lo, s1, v5, vcc_lo
	v_add_co_u32 v10, vcc_lo, v6, s6
	v_add_co_ci_u32_e32 v11, vcc_lo, s1, v7, vcc_lo
	;; [unrolled: 2-line block ×3, first 2 shown]
	s_clause 0x2
	global_load_dwordx2 v[4:5], v[4:5], off
	global_load_dwordx2 v[6:7], v[6:7], off
	global_load_dwordx2 v[10:11], v[10:11], off
	v_add_co_u32 v14, vcc_lo, v12, s6
	v_add_co_ci_u32_e32 v15, vcc_lo, s1, v13, vcc_lo
	global_load_dwordx2 v[12:13], v[12:13], off
	v_add_co_u32 v16, vcc_lo, v14, s6
	v_add_co_ci_u32_e32 v17, vcc_lo, s1, v15, vcc_lo
	global_load_dwordx2 v[14:15], v[14:15], off
	;; [unrolled: 3-line block ×6, first 2 shown]
	v_add_co_u32 v27, vcc_lo, v24, s6
	v_add_co_ci_u32_e32 v28, vcc_lo, s1, v25, vcc_lo
	global_load_dwordx2 v[83:84], v[8:9], off offset:1888
	global_load_dwordx2 v[8:9], v[24:25], off
	global_load_dwordx2 v[85:86], v[107:108], off offset:384
	global_load_dwordx2 v[24:25], v[27:28], off
	v_mul_hi_u32 v27, 0xaaaaaaab, v80
	s_load_dwordx4 s[8:11], s[10:11], 0x0
	v_cmp_gt_u16_e32 vcc_lo, 17, v26
	v_lshrrev_b32_e32 v27, 1, v27
	v_lshl_add_u32 v27, v27, 1, v27
	v_sub_nc_u32_e32 v27, v80, v27
	v_mul_u32_u24_e32 v27, 0x374, v27
	v_lshlrev_b32_e32 v121, 3, v27
	v_add_nc_u32_e32 v120, v29, v121
	v_add_nc_u32_e32 v27, 0x800, v120
	;; [unrolled: 1-line block ×3, first 2 shown]
	s_waitcnt vmcnt(14)
	v_mul_f32_e32 v29, v1, v98
	v_mul_f32_e32 v30, v0, v98
	s_waitcnt vmcnt(13)
	v_mul_f32_e32 v31, v3, v100
	v_fmac_f32_e32 v29, v0, v97
	v_fma_f32 v30, v1, v97, -v30
	v_mul_f32_e32 v1, v2, v100
	v_fmac_f32_e32 v31, v2, v99
	v_fma_f32 v32, v3, v99, -v1
	s_waitcnt vmcnt(12)
	v_mul_f32_e32 v0, v5, v96
	v_mul_f32_e32 v33, v4, v96
	s_waitcnt vmcnt(11)
	v_mul_f32_e32 v2, v7, v94
	v_mul_f32_e32 v34, v6, v94
	ds_write2_b64 v120, v[29:30], v[31:32] offset1:68
	v_fmac_f32_e32 v0, v4, v95
	v_fma_f32 v1, v5, v95, -v33
	v_fmac_f32_e32 v2, v6, v93
	v_fma_f32 v3, v7, v93, -v34
	s_waitcnt vmcnt(10)
	v_mul_f32_e32 v5, v10, v106
	v_mul_f32_e32 v4, v11, v106
	s_waitcnt vmcnt(9)
	v_mul_f32_e32 v6, v13, v104
	ds_write2_b64 v120, v[0:1], v[2:3] offset0:136 offset1:204
	v_fma_f32 v5, v11, v105, -v5
	v_mul_f32_e32 v1, v12, v104
	s_waitcnt vmcnt(8)
	v_mul_f32_e32 v3, v14, v102
	s_waitcnt vmcnt(7)
	v_mul_f32_e32 v11, v16, v92
	v_mul_f32_e32 v0, v15, v102
	;; [unrolled: 1-line block ×3, first 2 shown]
	v_fmac_f32_e32 v4, v10, v105
	v_fma_f32 v7, v13, v103, -v1
	v_fma_f32 v1, v15, v101, -v3
	s_waitcnt vmcnt(6)
	v_mul_f32_e32 v10, v19, v90
	v_fma_f32 v3, v17, v91, -v11
	v_mul_f32_e32 v11, v18, v90
	v_fmac_f32_e32 v6, v12, v103
	s_waitcnt vmcnt(5)
	v_mul_f32_e32 v12, v21, v88
	v_mul_f32_e32 v13, v20, v88
	v_fmac_f32_e32 v0, v14, v101
	v_fmac_f32_e32 v2, v16, v91
	;; [unrolled: 1-line block ×3, first 2 shown]
	s_waitcnt vmcnt(4)
	v_mul_f32_e32 v14, v23, v82
	v_mul_f32_e32 v15, v22, v82
	v_fma_f32 v11, v19, v89, -v11
	s_waitcnt vmcnt(2)
	v_mul_f32_e32 v16, v9, v84
	v_mul_f32_e32 v17, v8, v84
	s_waitcnt vmcnt(0)
	v_mul_f32_e32 v18, v25, v86
	v_mul_f32_e32 v19, v24, v86
	v_fmac_f32_e32 v12, v20, v87
	v_fma_f32 v13, v21, v87, -v13
	v_fmac_f32_e32 v14, v22, v81
	v_fma_f32 v15, v23, v81, -v15
	;; [unrolled: 2-line block ×4, first 2 shown]
	ds_write2_b64 v27, v[4:5], v[6:7] offset0:16 offset1:84
	ds_write2_b64 v27, v[0:1], v[2:3] offset0:152 offset1:220
	;; [unrolled: 1-line block ×4, first 2 shown]
	ds_write_b64 v120, v[18:19] offset:6528
	s_waitcnt lgkmcnt(0)
	s_barrier
	buffer_gl0_inv
	ds_read2_b64 v[0:3], v120 offset1:68
	ds_read_b64 v[24:25], v120 offset:6528
	ds_read2_b64 v[8:11], v27 offset0:16 offset1:84
	ds_read2_b64 v[4:7], v28 offset0:32 offset1:100
	;; [unrolled: 1-line block ×5, first 2 shown]
	buffer_store_dword v121, off, s[20:23], 0 ; 4-byte Folded Spill
	s_waitcnt lgkmcnt(0)
	s_waitcnt_vscnt null, 0x0
	s_barrier
	buffer_gl0_inv
	v_add_f32_e32 v35, v0, v2
	v_add_f32_e32 v38, v1, v3
	v_sub_f32_e32 v36, v3, v25
	v_sub_f32_e32 v37, v2, v24
	v_add_f32_e32 v39, v24, v2
	v_add_f32_e32 v45, v14, v16
	;; [unrolled: 1-line block ×3, first 2 shown]
	v_sub_f32_e32 v47, v16, v14
	v_sub_f32_e32 v48, v17, v15
	v_add_f32_e32 v16, v35, v16
	v_add_f32_e32 v17, v38, v17
	;; [unrolled: 1-line block ×3, first 2 shown]
	v_mul_f32_e32 v53, 0xbeedf032, v36
	v_mul_f32_e32 v54, 0xbeedf032, v37
	;; [unrolled: 1-line block ×12, first 2 shown]
	v_add_f32_e32 v16, v16, v18
	v_add_f32_e32 v17, v17, v19
	;; [unrolled: 1-line block ×4, first 2 shown]
	v_sub_f32_e32 v43, v8, v6
	v_sub_f32_e32 v44, v9, v7
	;; [unrolled: 1-line block ×4, first 2 shown]
	v_mul_f32_e32 v35, 0xbf52af12, v48
	v_mul_f32_e32 v38, 0xbf52af12, v47
	;; [unrolled: 1-line block ×12, first 2 shown]
	v_fma_f32 v139, 0x3f62ad3f, v39, -v53
	v_fmamk_f32 v140, v40, 0x3f62ad3f, v54
	v_fmac_f32_e32 v53, 0x3f62ad3f, v39
	v_fma_f32 v54, 0x3f62ad3f, v40, -v54
	v_fma_f32 v141, 0x3f116cb1, v39, -v55
	v_fmamk_f32 v142, v40, 0x3f116cb1, v56
	v_fmac_f32_e32 v55, 0x3f116cb1, v39
	v_fma_f32 v56, 0x3f116cb1, v40, -v56
	;; [unrolled: 4-line block ×6, first 2 shown]
	v_add_f32_e32 v8, v16, v8
	v_add_f32_e32 v9, v17, v9
	;; [unrolled: 1-line block ×4, first 2 shown]
	v_mul_f32_e32 v63, 0xbf7e222b, v52
	v_mul_f32_e32 v64, 0xbf7e222b, v51
	;; [unrolled: 1-line block ×12, first 2 shown]
	v_fma_f32 v18, 0x3f116cb1, v45, -v35
	v_fmamk_f32 v19, v46, 0x3f116cb1, v38
	v_fmac_f32_e32 v35, 0x3f116cb1, v45
	v_fma_f32 v38, 0x3f116cb1, v46, -v38
	v_fma_f32 v157, 0xbeb58ec6, v45, -v71
	v_fmamk_f32 v158, v46, 0xbeb58ec6, v72
	v_fmac_f32_e32 v71, 0xbeb58ec6, v45
	v_fma_f32 v72, 0xbeb58ec6, v46, -v72
	;; [unrolled: 4-line block ×3, first 2 shown]
	v_fmac_f32_e32 v125, 0xbf3f9e67, v45
	v_fma_f32 v178, 0x3df6dbef, v45, -v126
	v_fmac_f32_e32 v126, 0x3df6dbef, v45
	v_fma_f32 v179, 0x3f62ad3f, v45, -v48
	v_fmac_f32_e32 v48, 0x3f62ad3f, v45
	v_fma_f32 v45, 0xbf788fa5, v46, -v111
	v_fmamk_f32 v111, v46, 0xbf3f9e67, v127
	v_fma_f32 v127, 0xbf3f9e67, v46, -v127
	v_fmamk_f32 v180, v46, 0x3df6dbef, v128
	v_fma_f32 v128, 0x3df6dbef, v46, -v128
	;; [unrolled: 2-line block ×3, first 2 shown]
	v_add_f32_e32 v139, v0, v139
	v_add_f32_e32 v140, v1, v140
	;; [unrolled: 1-line block ×27, first 2 shown]
	v_sub_f32_e32 v29, v10, v4
	v_mul_f32_e32 v65, 0xbf6f5d39, v44
	v_mul_f32_e32 v66, 0xbf6f5d39, v43
	v_mul_f32_e32 v75, 0x3f29c268, v44
	v_mul_f32_e32 v76, 0x3f29c268, v43
	v_mul_f32_e32 v114, 0x3eedf032, v44
	v_mul_f32_e32 v115, 0x3eedf032, v43
	v_mul_f32_e32 v133, 0xbf7e222b, v44
	v_mul_f32_e32 v134, 0x3e750f2a, v44
	v_mul_f32_e32 v44, 0x3f52af12, v44
	v_mul_f32_e32 v135, 0xbf7e222b, v43
	v_mul_f32_e32 v136, 0x3e750f2a, v43
	v_mul_f32_e32 v43, 0x3f52af12, v43
	v_fma_f32 v39, 0x3df6dbef, v49, -v63
	v_fmamk_f32 v40, v50, 0x3df6dbef, v64
	v_fmac_f32_e32 v63, 0x3df6dbef, v49
	v_fma_f32 v64, 0x3df6dbef, v50, -v64
	v_fma_f32 v159, 0xbf788fa5, v49, -v73
	v_fmamk_f32 v160, v50, 0xbf788fa5, v74
	v_fmac_f32_e32 v73, 0xbf788fa5, v49
	v_fma_f32 v74, 0xbf788fa5, v50, -v74
	v_fma_f32 v169, 0xbeb58ec6, v49, -v112
	v_fmamk_f32 v170, v50, 0xbeb58ec6, v113
	v_fmac_f32_e32 v112, 0xbeb58ec6, v49
	v_fma_f32 v47, 0x3f62ad3f, v49, -v129
	v_fmac_f32_e32 v129, 0x3f62ad3f, v49
	v_fma_f32 v182, 0x3f116cb1, v49, -v130
	v_fmac_f32_e32 v130, 0x3f116cb1, v49
	v_fma_f32 v183, 0xbf3f9e67, v49, -v52
	;; [unrolled: 2-line block ×3, first 2 shown]
	v_fmamk_f32 v113, v50, 0x3f62ad3f, v131
	v_fma_f32 v131, 0x3f62ad3f, v50, -v131
	v_fmamk_f32 v184, v50, 0x3f116cb1, v132
	v_fma_f32 v132, 0x3f116cb1, v50, -v132
	;; [unrolled: 2-line block ×3, first 2 shown]
	v_add_f32_e32 v10, v18, v139
	v_add_f32_e32 v18, v38, v54
	;; [unrolled: 1-line block ×7, first 2 shown]
	v_sub_f32_e32 v33, v20, v22
	v_mul_f32_e32 v68, 0xbf29c268, v29
	v_fma_f32 v151, 0xbeb58ec6, v41, -v65
	v_fmamk_f32 v152, v42, 0xbeb58ec6, v66
	v_fmac_f32_e32 v65, 0xbeb58ec6, v41
	v_fma_f32 v66, 0xbeb58ec6, v42, -v66
	v_fma_f32 v161, 0xbf3f9e67, v41, -v75
	v_fmamk_f32 v162, v42, 0xbf3f9e67, v76
	v_fmac_f32_e32 v75, 0xbf3f9e67, v41
	v_fma_f32 v76, 0xbf3f9e67, v42, -v76
	;; [unrolled: 4-line block ×3, first 2 shown]
	v_fmac_f32_e32 v133, 0x3df6dbef, v41
	v_fma_f32 v186, 0xbf788fa5, v41, -v134
	v_fmac_f32_e32 v134, 0xbf788fa5, v41
	v_fma_f32 v187, 0x3f116cb1, v41, -v44
	;; [unrolled: 2-line block ×3, first 2 shown]
	v_fmamk_f32 v115, v42, 0x3df6dbef, v135
	v_fma_f32 v135, 0x3df6dbef, v42, -v135
	v_fmamk_f32 v188, v42, 0xbf788fa5, v136
	v_fma_f32 v136, 0xbf788fa5, v42, -v136
	;; [unrolled: 2-line block ×3, first 2 shown]
	v_add_f32_e32 v18, v64, v18
	v_add_f32_e32 v0, v52, v0
	;; [unrolled: 1-line block ×6, first 2 shown]
	v_mul_f32_e32 v70, 0xbe750f2a, v33
	v_fmamk_f32 v154, v2, 0xbf3f9e67, v68
	v_fma_f32 v68, 0xbf3f9e67, v2, -v68
	v_add_f32_e32 v17, v35, v53
	v_add_f32_e32 v35, v158, v142
	;; [unrolled: 1-line block ×8, first 2 shown]
	v_sub_f32_e32 v30, v11, v5
	v_add_f32_e32 v32, v22, v20
	v_mul_f32_e32 v78, 0x3f7e222b, v29
	v_fmamk_f32 v156, v31, 0xbf788fa5, v70
	v_fma_f32 v70, 0xbf788fa5, v31, -v70
	v_add_f32_e32 v11, v19, v140
	v_add_f32_e32 v19, v157, v141
	;; [unrolled: 1-line block ×9, first 2 shown]
	v_sub_f32_e32 v34, v21, v23
	v_mul_f32_e32 v67, 0xbf29c268, v30
	v_mul_f32_e32 v77, 0x3f7e222b, v30
	;; [unrolled: 1-line block ×4, first 2 shown]
	v_fmamk_f32 v164, v2, 0x3df6dbef, v78
	v_fma_f32 v78, 0x3df6dbef, v2, -v78
	v_add_f32_e32 v53, v168, v144
	v_add_f32_e32 v45, v45, v58
	;; [unrolled: 1-line block ×11, first 2 shown]
	v_mul_f32_e32 v79, 0x3eedf032, v34
	v_mul_f32_e32 v118, 0xbf29c268, v34
	;; [unrolled: 1-line block ×3, first 2 shown]
	v_fma_f32 v153, 0xbf3f9e67, v3, -v67
	v_fma_f32 v163, 0x3df6dbef, v3, -v77
	v_fmamk_f32 v166, v31, 0x3f62ad3f, v109
	v_fma_f32 v109, 0x3f62ad3f, v31, -v109
	v_fma_f32 v173, 0x3f116cb1, v3, -v116
	v_add_f32_e32 v54, v110, v57
	v_add_f32_e32 v55, v177, v145
	;; [unrolled: 1-line block ×15, first 2 shown]
	v_mul_f32_e32 v117, 0xbf52af12, v29
	v_fma_f32 v165, 0x3f62ad3f, v32, -v79
	v_fma_f32 v175, 0xbf3f9e67, v32, -v118
	v_add_f32_e32 v62, v128, v62
	v_add_f32_e32 v11, v40, v11
	;; [unrolled: 1-line block ×17, first 2 shown]
	v_fmamk_f32 v14, v2, 0xbf788fa5, v138
	v_mul_f32_e32 v18, 0x3eedf032, v30
	v_mul_f32_e32 v69, 0xbe750f2a, v34
	;; [unrolled: 1-line block ×3, first 2 shown]
	v_fmac_f32_e32 v67, 0xbf3f9e67, v3
	v_fmac_f32_e32 v77, 0x3df6dbef, v3
	v_fmamk_f32 v174, v2, 0x3f116cb1, v117
	v_fmac_f32_e32 v116, 0x3f116cb1, v3
	v_add_f32_e32 v16, v181, v16
	v_add_f32_e32 v54, v132, v62
	;; [unrolled: 1-line block ×12, first 2 shown]
	v_mul_f32_e32 v19, 0x3eedf032, v29
	v_add_f32_e32 v22, v14, v39
	v_fma_f32 v14, 0x3f62ad3f, v3, -v18
	v_fmac_f32_e32 v18, 0x3f62ad3f, v3
	v_add_f32_e32 v60, v180, v148
	v_add_f32_e32 v71, v179, v149
	v_fma_f32 v155, 0xbf788fa5, v32, -v69
	v_fmac_f32_e32 v69, 0xbf788fa5, v32
	v_fmac_f32_e32 v79, 0x3f62ad3f, v32
	v_fma_f32 v43, 0x3f116cb1, v2, -v117
	v_fma_f32 v117, 0xbf788fa5, v3, -v137
	v_add_f32_e32 v16, v185, v16
	v_add_f32_e32 v38, v51, v40
	;; [unrolled: 1-line block ×9, first 2 shown]
	v_mul_f32_e32 v25, 0xbf6f5d39, v30
	v_add_f32_e32 v30, v14, v45
	v_fma_f32 v14, 0x3f62ad3f, v2, -v19
	v_add_f32_e32 v35, v18, v47
	v_fmac_f32_e32 v118, 0xbf3f9e67, v32
	v_mul_f32_e32 v18, 0xbf6f5d39, v29
	v_add_f32_e32 v46, v129, v57
	v_add_f32_e32 v49, v184, v60
	;; [unrolled: 1-line block ×3, first 2 shown]
	v_mul_f32_e32 v124, 0xbf29c268, v33
	v_add_f32_e32 v16, v189, v16
	v_add_f32_e32 v0, v69, v8
	;; [unrolled: 1-line block ×7, first 2 shown]
	v_fmamk_f32 v21, v2, 0xbeb58ec6, v18
	v_mul_f32_e32 v37, 0x3f52af12, v34
	v_mul_f32_e32 v38, 0x3f52af12, v33
	v_add_f32_e32 v40, v133, v46
	v_add_f32_e32 v46, v188, v49
	;; [unrolled: 1-line block ×3, first 2 shown]
	v_fmamk_f32 v24, v2, 0x3f62ad3f, v19
	v_fma_f32 v19, 0xbeb58ec6, v3, -v25
	v_fmamk_f32 v176, v31, 0xbf3f9e67, v124
	v_fmac_f32_e32 v137, 0xbf788fa5, v3
	v_fmac_f32_e32 v25, 0xbeb58ec6, v3
	v_add_f32_e32 v39, v21, v16
	v_fma_f32 v3, 0x3f116cb1, v32, -v37
	v_fmamk_f32 v16, v31, 0x3f116cb1, v38
	v_add_f32_e32 v36, v19, v49
	v_fma_f32 v19, 0xbf3f9e67, v31, -v124
	v_mul_f32_e32 v21, 0xbf6f5d39, v34
	v_add_f32_e32 v7, v166, v11
	v_add_f32_e32 v11, v176, v20
	v_fma_f32 v20, 0xbf788fa5, v2, -v138
	v_fma_f32 v18, 0xbeb58ec6, v2, -v18
	v_add_f32_e32 v2, v3, v17
	v_add_f32_e32 v3, v16, v22
	v_mul_f32_e32 v22, 0xbf6f5d39, v33
	v_add_f32_e32 v15, v19, v15
	v_fma_f32 v19, 0xbeb58ec6, v32, -v21
	v_add_f32_e32 v23, v137, v40
	v_add_f32_e32 v24, v24, v46
	v_fmac_f32_e32 v37, 0x3f116cb1, v32
	v_fmamk_f32 v40, v31, 0xbeb58ec6, v22
	v_fma_f32 v17, 0x3f116cb1, v31, -v38
	v_add_f32_e32 v38, v18, v42
	v_add_f32_e32 v18, v19, v30
	v_mul_lo_u16 v30, v26, 13
	v_add_f32_e32 v20, v20, v41
	v_add_f32_e32 v16, v37, v23
	v_fmac_f32_e32 v21, 0xbeb58ec6, v32
	v_add_f32_e32 v19, v40, v24
	v_fma_f32 v22, 0xbeb58ec6, v31, -v22
	v_mul_f32_e32 v24, 0x3f7e222b, v34
	v_mul_f32_e32 v23, 0x3f7e222b, v33
	v_and_b32_e32 v30, 0xffff, v30
	v_add_f32_e32 v25, v25, v44
	v_add_f32_e32 v17, v17, v20
	;; [unrolled: 1-line block ×4, first 2 shown]
	v_fma_f32 v22, 0x3df6dbef, v32, -v24
	v_fmamk_f32 v29, v31, 0x3df6dbef, v23
	v_fmac_f32_e32 v24, 0x3df6dbef, v32
	v_fma_f32 v31, 0x3df6dbef, v31, -v23
	v_add_f32_e32 v4, v155, v4
	v_add_f32_e32 v5, v156, v5
	v_lshl_add_u32 v126, v30, 3, v121
	v_add_f32_e32 v22, v22, v36
	v_add_f32_e32 v23, v29, v39
	;; [unrolled: 1-line block ×4, first 2 shown]
	ds_write2_b64 v126, v[12:13], v[4:5] offset1:1
	ds_write2_b64 v126, v[6:7], v[10:11] offset0:2 offset1:3
	ds_write2_b64 v126, v[2:3], v[18:19] offset0:4 offset1:5
	;; [unrolled: 1-line block ×5, first 2 shown]
	ds_write_b64 v126, v[0:1] offset:96
	v_add_nc_u32_e32 v8, 0x1400, v120
	s_waitcnt lgkmcnt(0)
	s_barrier
	buffer_gl0_inv
	ds_read2_b64 v[4:7], v120 offset1:68
	ds_read2_b64 v[12:15], v120 offset0:136 offset1:221
	ds_read2_b64 v[40:43], v27 offset0:186 offset1:254
	;; [unrolled: 1-line block ×5, first 2 shown]
                                        ; kill: def $vgpr2 killed $sgpr0 killed $exec
                                        ; implicit-def: $vgpr46
	s_and_saveexec_b32 s0, vcc_lo
	s_cbranch_execz .LBB0_3
; %bb.2:
	v_add_nc_u32_e32 v0, 0x600, v120
	ds_read2_b64 v[0:3], v0 offset0:12 offset1:233
	ds_read2_b64 v[44:47], v8 offset0:6 offset1:227
.LBB0_3:
	s_or_b32 exec_lo, exec_lo, s0
	v_add_nc_u16 v9, v119, 0xcc
	v_mov_b32_e32 v10, 0x4ec5
	v_and_b32_e32 v8, 0xff, v119
	v_add_nc_u16 v11, v119, 0x44
	v_mul_u32_u24_sdwa v10, v9, v10 dst_sel:DWORD dst_unused:UNUSED_PAD src0_sel:WORD_0 src1_sel:DWORD
	v_mul_lo_u16 v8, 0x4f, v8
	v_and_b32_e32 v16, 0xff, v11
	v_lshrrev_b32_e32 v17, 18, v10
	v_add_nc_u16 v10, v119, 0x88
	v_lshrrev_b16 v50, 10, v8
	v_mul_lo_u16 v16, 0x4f, v16
	buffer_store_dword v17, off, s[20:23], 0 offset:4 ; 4-byte Folded Spill
	v_mul_lo_u16 v17, v17, 13
	v_and_b32_e32 v18, 0xff, v10
	v_mul_lo_u16 v8, v50, 13
	v_lshrrev_b16 v52, 10, v16
	v_sub_nc_u16 v9, v9, v17
	v_mul_lo_u16 v17, 0x4f, v18
	v_sub_nc_u16 v8, v119, v8
	v_mul_lo_u16 v16, v9, 24
	v_lshrrev_b16 v53, 10, v17
	v_mul_lo_u16 v17, v52, 13
	v_and_b32_e32 v51, 0xff, v8
	buffer_store_dword v9, off, s[20:23], 0 offset:8 ; 4-byte Folded Spill
	v_and_b32_e32 v16, 0xffff, v16
	v_mul_lo_u16 v18, v53, 13
	v_sub_nc_u16 v11, v11, v17
	v_mad_u64_u32 v[8:9], null, v51, 24, s[2:3]
	v_add_co_u32 v16, s0, s2, v16
	v_sub_nc_u16 v18, v10, v18
	v_add_co_ci_u32_e64 v17, null, s3, 0, s0
	v_and_b32_e32 v54, 0xff, v11
	s_clause 0x1
	global_load_dwordx4 v[24:27], v[8:9], off
	global_load_dwordx2 v[115:116], v[8:9], off offset:16
	v_and_b32_e32 v55, 0xff, v18
	s_clause 0x1
	global_load_dwordx4 v[8:11], v[16:17], off
	global_load_dwordx2 v[109:110], v[16:17], off offset:16
	v_mad_u64_u32 v[16:17], null, v54, 24, s[2:3]
	v_mad_u64_u32 v[48:49], null, v55, 24, s[2:3]
	s_clause 0x3
	global_load_dwordx4 v[20:23], v[16:17], off
	global_load_dwordx2 v[113:114], v[16:17], off offset:16
	global_load_dwordx4 v[16:19], v[48:49], off
	global_load_dwordx2 v[111:112], v[48:49], off offset:16
	v_mov_b32_e32 v48, 52
	v_mul_u32_u24_sdwa v49, v50, v48 dst_sel:DWORD dst_unused:UNUSED_PAD src0_sel:WORD_0 src1_sel:DWORD
	v_mul_u32_u24_sdwa v50, v52, v48 dst_sel:DWORD dst_unused:UNUSED_PAD src0_sel:WORD_0 src1_sel:DWORD
	v_mul_u32_u24_sdwa v48, v53, v48 dst_sel:DWORD dst_unused:UNUSED_PAD src0_sel:WORD_0 src1_sel:DWORD
	v_add_nc_u32_e32 v49, v49, v51
	buffer_load_dword v51, off, s[20:23], 0 ; 4-byte Folded Reload
	v_add_nc_u32_e32 v50, v50, v54
	v_add_nc_u32_e32 v48, v48, v55
	s_waitcnt vmcnt(0) lgkmcnt(0)
	s_waitcnt_vscnt null, 0x0
	s_barrier
	buffer_gl0_inv
	v_mul_f32_e32 v52, v31, v116
	v_mul_f32_e32 v53, v30, v116
	;; [unrolled: 1-line block ×8, first 2 shown]
	v_fma_f32 v30, v30, v115, -v52
	v_fmac_f32_e32 v53, v31, v115
	v_mul_f32_e32 v31, v37, v21
	v_mul_f32_e32 v52, v32, v114
	;; [unrolled: 1-line block ×8, first 2 shown]
	v_fma_f32 v2, v2, v8, -v54
	v_fmac_f32_e32 v55, v3, v8
	v_fma_f32 v3, v44, v10, -v56
	v_fmac_f32_e32 v57, v45, v10
	;; [unrolled: 2-line block ×3, first 2 shown]
	v_lshl_add_u32 v121, v49, 3, v51
	v_lshl_add_u32 v118, v50, 3, v51
	;; [unrolled: 1-line block ×3, first 2 shown]
	v_mul_f32_e32 v48, v15, v25
	v_mul_f32_e32 v49, v14, v25
	;; [unrolled: 1-line block ×4, first 2 shown]
	v_fma_f32 v31, v36, v20, -v31
	v_fma_f32 v14, v14, v24, -v48
	v_fmac_f32_e32 v49, v15, v24
	v_fma_f32 v15, v40, v26, -v50
	v_fmac_f32_e32 v51, v41, v26
	v_mul_f32_e32 v40, v36, v21
	v_mul_f32_e32 v41, v43, v23
	;; [unrolled: 1-line block ×4, first 2 shown]
	v_fmac_f32_e32 v52, v33, v113
	v_fmac_f32_e32 v40, v37, v20
	v_fma_f32 v36, v42, v22, -v41
	v_fmac_f32_e32 v48, v43, v22
	v_fma_f32 v32, v32, v113, -v50
	v_fma_f32 v33, v38, v16, -v60
	v_fmac_f32_e32 v61, v39, v16
	v_fma_f32 v28, v28, v18, -v62
	v_fmac_f32_e32 v63, v29, v18
	;; [unrolled: 2-line block ×3, first 2 shown]
	v_sub_f32_e32 v15, v4, v15
	v_sub_f32_e32 v34, v5, v51
	;; [unrolled: 1-line block ×8, first 2 shown]
	v_fma_f32 v4, v4, 2.0, -v15
	v_fma_f32 v14, v14, 2.0, -v30
	;; [unrolled: 1-line block ×3, first 2 shown]
	v_sub_f32_e32 v50, v15, v35
	v_add_f32_e32 v51, v34, v30
	v_sub_f32_e32 v30, v6, v36
	v_sub_f32_e32 v35, v7, v48
	;; [unrolled: 1-line block ×8, first 2 shown]
	v_fma_f32 v5, v5, 2.0, -v34
	v_fma_f32 v0, v0, 2.0, -v3
	;; [unrolled: 1-line block ×5, first 2 shown]
	v_sub_f32_e32 v48, v4, v14
	v_fma_f32 v54, v15, 2.0, -v50
	v_fma_f32 v6, v6, 2.0, -v30
	;; [unrolled: 1-line block ×5, first 2 shown]
	v_add_f32_e32 v63, v35, v32
	v_fma_f32 v12, v12, 2.0, -v28
	v_fma_f32 v13, v13, 2.0, -v42
	;; [unrolled: 1-line block ×4, first 2 shown]
	v_sub_f32_e32 v58, v3, v39
	v_add_f32_e32 v59, v37, v38
	v_sub_f32_e32 v49, v5, v41
	v_sub_f32_e32 v62, v30, v36
	;; [unrolled: 1-line block ×3, first 2 shown]
	v_add_f32_e32 v67, v42, v29
	v_sub_f32_e32 v56, v0, v2
	v_sub_f32_e32 v57, v1, v44
	;; [unrolled: 1-line block ×6, first 2 shown]
	v_fma_f32 v55, v34, 2.0, -v51
	v_fma_f32 v70, v3, 2.0, -v58
	;; [unrolled: 1-line block ×15, first 2 shown]
	ds_write2_b64 v121, v[48:49], v[50:51] offset0:26 offset1:39
	buffer_store_dword v121, off, s[20:23], 0 offset:20 ; 4-byte Folded Spill
	ds_write2_b64 v121, v[52:53], v[54:55] offset1:13
	ds_write2_b64 v118, v[60:61], v[62:63] offset0:26 offset1:39
	buffer_store_dword v118, off, s[20:23], 0 offset:16 ; 4-byte Folded Spill
	ds_write2_b64 v118, v[72:73], v[74:75] offset1:13
	ds_write2_b64 v117, v[76:77], v[78:79] offset1:13
	buffer_store_dword v117, off, s[20:23], 0 offset:12 ; 4-byte Folded Spill
	ds_write2_b64 v117, v[64:65], v[66:67] offset0:26 offset1:39
	s_and_saveexec_b32 s0, vcc_lo
	s_cbranch_execz .LBB0_5
; %bb.4:
	s_clause 0x1
	buffer_load_dword v0, off, s[20:23], 0 offset:4
	buffer_load_dword v1, off, s[20:23], 0 offset:8
	s_waitcnt vmcnt(0)
	v_mad_u16 v0, v0, 52, v1
	buffer_load_dword v1, off, s[20:23], 0  ; 4-byte Folded Reload
	v_and_b32_e32 v0, 0xffff, v0
	s_waitcnt vmcnt(0)
	v_lshl_add_u32 v0, v0, 3, v1
	ds_write2_b64 v0, v[68:69], v[70:71] offset1:13
	ds_write2_b64 v0, v[56:57], v[58:59] offset0:26 offset1:39
.LBB0_5:
	s_or_b32 exec_lo, exec_lo, s0
	v_cmp_gt_u16_e64 s0, 52, v119
	s_waitcnt lgkmcnt(0)
	s_waitcnt_vscnt null, 0x0
	s_barrier
	buffer_gl0_inv
                                        ; implicit-def: $vgpr117
	s_and_saveexec_b32 s1, s0
	s_cbranch_execz .LBB0_7
; %bb.6:
	v_add_nc_u32_e32 v0, 0x400, v120
	v_add_nc_u32_e32 v1, 0x800, v120
	;; [unrolled: 1-line block ×3, first 2 shown]
	ds_read2_b64 v[52:55], v120 offset1:52
	ds_read2_b64 v[48:51], v120 offset0:104 offset1:156
	ds_read2_b64 v[72:75], v0 offset0:80 offset1:132
	v_add_nc_u32_e32 v0, 0x1400, v120
	ds_read2_b64 v[60:63], v1 offset0:56 offset1:108
	ds_read2_b64 v[76:79], v1 offset0:160 offset1:212
	;; [unrolled: 1-line block ×5, first 2 shown]
	ds_read_b64 v[117:118], v120 offset:6656
.LBB0_7:
	s_or_b32 exec_lo, exec_lo, s1
	v_lshlrev_b32_e32 v0, 4, v119
	v_add_co_u32 v2, s1, 0xfffffcc0, v0
	v_add_co_ci_u32_e64 v1, null, 0, -1, s1
	v_cndmask_b32_e64 v0, v2, v0, s0
	v_cndmask_b32_e64 v1, v1, 0, s0
	v_lshlrev_b64 v[0:1], 3, v[0:1]
	v_add_co_u32 v44, s1, s2, v0
	v_add_co_ci_u32_e64 v45, s1, s3, v1, s1
	s_clause 0x7
	global_load_dwordx4 v[36:39], v[44:45], off offset:312
	global_load_dwordx4 v[28:31], v[44:45], off offset:328
	;; [unrolled: 1-line block ×8, first 2 shown]
	s_waitcnt vmcnt(7) lgkmcnt(8)
	v_mul_f32_e32 v145, v55, v37
	v_mul_f32_e32 v181, v54, v37
	s_waitcnt lgkmcnt(7)
	v_mul_f32_e32 v146, v49, v39
	s_waitcnt vmcnt(6) lgkmcnt(6)
	v_mul_f32_e32 v149, v73, v31
	v_mul_f32_e32 v142, v72, v31
	s_waitcnt vmcnt(5)
	v_mul_f32_e32 v150, v75, v13
	v_mul_f32_e32 v141, v74, v13
	s_waitcnt lgkmcnt(5)
	v_mul_f32_e32 v151, v61, v15
	v_mul_f32_e32 v140, v60, v15
	s_waitcnt vmcnt(4)
	v_mul_f32_e32 v152, v63, v1
	s_waitcnt lgkmcnt(4)
	v_mul_f32_e32 v153, v77, v3
	s_waitcnt vmcnt(3)
	v_mul_f32_e32 v154, v79, v5
	s_waitcnt vmcnt(2) lgkmcnt(3)
	v_mul_f32_e32 v156, v67, v33
	s_waitcnt lgkmcnt(2)
	v_mul_f32_e32 v157, v69, v35
	s_waitcnt vmcnt(0) lgkmcnt(0)
	v_mul_f32_e32 v161, v118, v47
	v_mul_f32_e32 v130, v117, v47
	;; [unrolled: 1-line block ×10, first 2 shown]
	v_fma_f32 v192, v54, v36, -v145
	v_fmac_f32_e32 v181, v55, v36
	v_fma_f32 v148, v48, v38, -v146
	v_fma_f32 v146, v72, v30, -v149
	v_fmac_f32_e32 v142, v73, v30
	v_fma_f32 v145, v74, v12, -v150
	v_fmac_f32_e32 v141, v75, v12
	v_fma_f32 v75, v60, v14, -v151
	v_fmac_f32_e32 v140, v61, v14
	v_fma_f32 v74, v62, v0, -v152
	v_fma_f32 v73, v76, v2, -v153
	;; [unrolled: 1-line block ×6, first 2 shown]
	v_fmac_f32_e32 v130, v118, v46
	v_mul_f32_e32 v147, v51, v29
	v_mul_f32_e32 v143, v50, v29
	;; [unrolled: 1-line block ×6, first 2 shown]
	v_fmac_f32_e32 v144, v49, v38
	v_fmac_f32_e32 v138, v77, v2
	;; [unrolled: 1-line block ×5, first 2 shown]
	v_fma_f32 v55, v58, v44, -v160
	v_fmac_f32_e32 v131, v59, v44
	v_sub_f32_e32 v225, v192, v54
	v_sub_f32_e32 v209, v181, v130
	;; [unrolled: 1-line block ×5, first 2 shown]
	v_mul_f32_e32 v137, v64, v7
	v_mul_f32_e32 v133, v70, v41
	v_fma_f32 v147, v50, v28, -v147
	v_fmac_f32_e32 v143, v51, v28
	v_fmac_f32_e32 v139, v63, v0
	v_fma_f32 v63, v64, v6, -v155
	v_fma_f32 v60, v70, v40, -v158
	;; [unrolled: 1-line block ×3, first 2 shown]
	v_fmac_f32_e32 v132, v57, v42
	v_add_f32_e32 v208, v192, v54
	v_add_f32_e32 v210, v181, v130
	v_sub_f32_e32 v154, v148, v55
	v_sub_f32_e32 v166, v144, v131
	v_add_f32_e32 v68, v141, v134
	v_add_f32_e32 v70, v140, v135
	v_sub_f32_e32 v189, v140, v135
	v_add_f32_e32 v149, v138, v136
	v_sub_f32_e32 v193, v138, v136
	v_mul_f32_e32 v226, 0xbeb8f4ab, v209
	v_mul_f32_e32 v227, 0xbeb8f4ab, v225
	;; [unrolled: 1-line block ×11, first 2 shown]
	v_fmac_f32_e32 v137, v65, v6
	v_fmac_f32_e32 v133, v71, v40
	v_add_f32_e32 v57, v148, v55
	v_add_f32_e32 v58, v144, v131
	v_sub_f32_e32 v165, v147, v56
	v_sub_f32_e32 v167, v143, v132
	v_add_f32_e32 v69, v75, v62
	v_sub_f32_e32 v188, v74, v63
	v_add_f32_e32 v79, v73, v72
	v_mul_f32_e32 v50, 0xbf2c7751, v166
	v_mul_f32_e32 v51, 0xbf2c7751, v154
	;; [unrolled: 1-line block ×11, first 2 shown]
	v_fmamk_f32 v48, v208, 0x3f6eb680, v226
	v_fma_f32 v49, 0x3f6eb680, v210, -v227
	buffer_store_dword v150, off, s[20:23], 0 offset:56 ; 4-byte Folded Spill
	v_fma_f32 v237, 0xbf1a4643, v70, -v150
	buffer_store_dword v128, off, s[20:23], 0 offset:44 ; 4-byte Folded Spill
	v_fma_f32 v241, 0xbf7ba420, v149, -v128
	v_fmamk_f32 v242, v208, 0x3f3d2fb0, v228
	v_fma_f32 v244, 0x3f3d2fb0, v210, -v229
	buffer_store_dword v164, off, s[20:23], 0 offset:124 ; 4-byte Folded Spill
	v_fma_f32 v251, 0xbf59a7d5, v68, -v164
	v_fmamk_f32 v128, v208, 0x3ee437d1, v230
	v_fma_f32 v150, 0x3ee437d1, v210, -v231
	v_fmamk_f32 v164, v208, 0x3dbcf732, v232
	v_fma_f32 v179, 0x3dbcf732, v210, -v233
	v_add_f32_e32 v59, v147, v56
	v_add_f32_e32 v64, v143, v132
	v_sub_f32_e32 v168, v146, v60
	v_sub_f32_e32 v169, v142, v133
	v_add_f32_e32 v76, v139, v137
	v_mul_f32_e32 v77, 0xbf65296c, v167
	v_mul_f32_e32 v78, 0xbf65296c, v165
	;; [unrolled: 1-line block ×10, first 2 shown]
	buffer_store_dword v50, off, s[20:23], 0 offset:64 ; 4-byte Folded Spill
	v_fmamk_f32 v50, v57, 0x3f3d2fb0, v50
	buffer_store_dword v51, off, s[20:23], 0 offset:76 ; 4-byte Folded Spill
	v_fma_f32 v51, 0x3f3d2fb0, v58, -v51
	buffer_store_dword v129, off, s[20:23], 0 offset:52 ; 4-byte Folded Spill
	v_fma_f32 v235, 0xbe8c1d8e, v68, -v129
	buffer_store_dword v121, off, s[20:23], 0 offset:24 ; 4-byte Folded Spill
	v_fmamk_f32 v236, v69, 0xbf1a4643, v121
	buffer_store_dword v125, off, s[20:23], 0 offset:32 ; 4-byte Folded Spill
	v_fmamk_f32 v240, v79, 0xbf7ba420, v125
	v_fmamk_f32 v243, v57, 0x3dbcf732, v152
	v_fma_f32 v245, 0x3dbcf732, v58, -v160
	v_fmamk_f32 v129, v57, 0xbf1a4643, v194
	v_fma_f32 v125, 0xbf1a4643, v58, -v202
	;; [unrolled: 2-line block ×3, first 2 shown]
	v_add_f32_e32 v48, v52, v48
	v_add_f32_e32 v49, v53, v49
	;; [unrolled: 1-line block ×10, first 2 shown]
	v_sub_f32_e32 v172, v141, v134
	v_mul_f32_e32 v117, 0xbf7ee86f, v169
	v_mul_f32_e32 v118, 0xbf7ee86f, v168
	;; [unrolled: 1-line block ×9, first 2 shown]
	buffer_store_dword v77, off, s[20:23], 0 offset:48 ; 4-byte Folded Spill
	v_fmamk_f32 v77, v59, 0x3ee437d1, v77
	buffer_store_dword v78, off, s[20:23], 0 offset:72 ; 4-byte Folded Spill
	v_fma_f32 v78, 0x3ee437d1, v64, -v78
	buffer_store_dword v151, off, s[20:23], 0 offset:60 ; 4-byte Folded Spill
	v_fma_f32 v239, 0xbf59a7d5, v76, -v151
	buffer_store_dword v152, off, s[20:23], 0 offset:80 ; 4-byte Folded Spill
	v_fmamk_f32 v246, v59, 0xbf1a4643, v153
	v_fma_f32 v247, 0xbf1a4643, v64, -v162
	buffer_store_dword v171, off, s[20:23], 0 offset:128 ; 4-byte Folded Spill
	v_fma_f32 v253, 0xbe8c1d8e, v70, -v171
	v_fmamk_f32 v151, v59, 0xbf7ba420, v195
	v_fma_f32 v152, 0xbf7ba420, v64, -v203
	v_fmamk_f32 v171, v59, 0xbe8c1d8e, v216
	v_fma_f32 v182, 0xbe8c1d8e, v64, -v224
	v_add_f32_e32 v48, v50, v48
	v_add_f32_e32 v49, v51, v49
	;; [unrolled: 1-line block ×9, first 2 shown]
	v_sub_f32_e32 v191, v139, v137
	v_mul_f32_e32 v127, 0xbf763a35, v172
	v_mul_f32_e32 v156, 0x3f06c442, v172
	;; [unrolled: 1-line block ×7, first 2 shown]
	buffer_store_dword v117, off, s[20:23], 0 offset:40 ; 4-byte Folded Spill
	v_fmamk_f32 v117, v65, 0x3dbcf732, v117
	buffer_store_dword v118, off, s[20:23], 0 offset:68 ; 4-byte Folded Spill
	v_fma_f32 v118, 0x3dbcf732, v66, -v118
	buffer_store_dword v153, off, s[20:23], 0 offset:84 ; 4-byte Folded Spill
	buffer_store_dword v155, off, s[20:23], 0 offset:88 ; 4-byte Folded Spill
	v_fmamk_f32 v248, v65, 0xbf7ba420, v155
	v_fma_f32 v249, 0xbf7ba420, v66, -v163
	buffer_store_dword v174, off, s[20:23], 0 offset:132 ; 4-byte Folded Spill
	v_fma_f32 v255, 0x3ee437d1, v76, -v174
	v_fmamk_f32 v153, v65, 0xbe8c1d8e, v196
	v_fma_f32 v155, 0xbe8c1d8e, v66, -v205
	v_fmamk_f32 v174, v65, 0x3f6eb680, v215
	v_fma_f32 v183, 0x3f6eb680, v66, -v222
	v_add_f32_e32 v48, v77, v48
	v_add_f32_e32 v49, v78, v49
	;; [unrolled: 1-line block ×9, first 2 shown]
	v_mul_f32_e32 v124, 0xbf06c442, v191
	v_mul_f32_e32 v158, 0x3f65296c, v191
	;; [unrolled: 1-line block ×7, first 2 shown]
	v_fmamk_f32 v234, v67, 0xbe8c1d8e, v127
	buffer_store_dword v156, off, s[20:23], 0 offset:92 ; 4-byte Folded Spill
	v_fmamk_f32 v250, v67, 0xbf59a7d5, v156
	buffer_store_dword v157, off, s[20:23], 0 offset:96 ; 4-byte Folded Spill
	v_fmamk_f32 v252, v69, 0xbe8c1d8e, v157
	v_fmamk_f32 v156, v67, 0x3f3d2fb0, v197
	v_fma_f32 v157, 0x3f3d2fb0, v68, -v207
	v_fmamk_f32 v175, v67, 0x3ee437d1, v214
	v_fma_f32 v184, 0x3ee437d1, v68, -v221
	v_add_f32_e32 v48, v117, v48
	v_add_f32_e32 v49, v118, v49
	;; [unrolled: 1-line block ×8, first 2 shown]
	v_mul_f32_e32 v161, 0x3eb8f4ab, v190
	v_mul_f32_e32 v199, 0xbf7ee86f, v191
	;; [unrolled: 1-line block ×5, first 2 shown]
	buffer_store_dword v124, off, s[20:23], 0 offset:28 ; 4-byte Folded Spill
	v_fmamk_f32 v238, v71, 0xbf59a7d5, v124
	buffer_store_dword v158, off, s[20:23], 0 offset:100 ; 4-byte Folded Spill
	v_fmamk_f32 v254, v71, 0x3ee437d1, v158
	;; [unrolled: 2-line block ×3, first 2 shown]
	v_fmamk_f32 v158, v69, 0x3f6eb680, v198
	v_fma_f32 v159, 0x3f6eb680, v70, -v206
	v_fmamk_f32 v176, v69, 0xbf59a7d5, v213
	v_fma_f32 v185, 0xbf59a7d5, v70, -v220
	v_add_f32_e32 v48, v234, v48
	v_add_f32_e32 v49, v235, v49
	;; [unrolled: 1-line block ×8, first 2 shown]
	v_mul_f32_e32 v200, 0xbf06c442, v193
	v_mul_f32_e32 v201, 0xbf06c442, v190
	;; [unrolled: 1-line block ×4, first 2 shown]
	buffer_store_dword v127, off, s[20:23], 0 offset:36 ; 4-byte Folded Spill
	buffer_store_dword v160, off, s[20:23], 0 offset:108 ; 4-byte Folded Spill
	;; [unrolled: 1-line block ×3, first 2 shown]
	v_fma_f32 v127, 0x3f6eb680, v149, -v161
	v_fmamk_f32 v160, v71, 0x3dbcf732, v199
	v_fma_f32 v161, 0x3dbcf732, v76, -v204
	v_fmamk_f32 v177, v71, 0xbf1a4643, v212
	v_fma_f32 v186, 0xbf1a4643, v76, -v219
	v_add_f32_e32 v48, v236, v48
	v_add_f32_e32 v49, v237, v49
	;; [unrolled: 1-line block ×8, first 2 shown]
	buffer_store_dword v162, off, s[20:23], 0 offset:116 ; 4-byte Folded Spill
	buffer_store_dword v163, off, s[20:23], 0 offset:120 ; 4-byte Folded Spill
	v_fmamk_f32 v162, v79, 0xbf59a7d5, v200
	v_fma_f32 v163, 0xbf59a7d5, v149, -v201
	v_fmamk_f32 v178, v79, 0x3f3d2fb0, v211
	v_fma_f32 v187, 0x3f3d2fb0, v149, -v218
	v_add_f32_e32 v48, v238, v48
	v_add_f32_e32 v49, v239, v49
	;; [unrolled: 1-line block ×16, first 2 shown]
	s_and_saveexec_b32 s1, s0
	s_cbranch_execz .LBB0_9
; %bb.8:
	v_mul_f32_e32 v171, 0xbf4c4adb, v209
	v_mul_f32_e32 v124, 0x3dbcf732, v208
	;; [unrolled: 1-line block ×9, first 2 shown]
	v_fma_f32 v176, 0xbf1a4643, v208, -v171
	v_fmac_f32_e32 v171, 0xbf1a4643, v208
	v_sub_f32_e32 v124, v124, v232
	v_sub_f32_e32 v127, v127, v230
	;; [unrolled: 1-line block ×4, first 2 shown]
	v_fmamk_f32 v158, v225, 0x3f763a35, v157
	v_fmamk_f32 v162, v208, 0xbf7ba420, v161
	v_fma_f32 v161, 0xbf7ba420, v208, -v161
	v_fmamk_f32 v174, v208, 0xbf59a7d5, v163
	v_fma_f32 v163, 0xbf59a7d5, v208, -v163
	;; [unrolled: 2-line block ×3, first 2 shown]
	v_add_f32_e32 v179, v52, v171
	v_mul_f32_e32 v171, 0xbf59a7d5, v58
	v_mul_f32_e32 v234, 0x3dbcf732, v210
	;; [unrolled: 1-line block ×8, first 2 shown]
	v_add_f32_e32 v158, v53, v158
	v_add_f32_e32 v175, v52, v175
	;; [unrolled: 1-line block ×13, first 2 shown]
	v_fmamk_f32 v52, v154, 0xbf06c442, v171
	v_add_f32_e32 v121, v233, v234
	v_add_f32_e32 v125, v231, v125
	;; [unrolled: 1-line block ×4, first 2 shown]
	v_fmamk_f32 v153, v225, 0x3e3c28d5, v152
	v_fmac_f32_e32 v152, 0xbe3c28d5, v225
	v_fmamk_f32 v156, v225, 0x3f06c442, v155
	v_fmac_f32_e32 v155, 0xbf06c442, v225
	v_fmac_f32_e32 v157, 0xbf763a35, v225
	v_fmamk_f32 v160, v210, 0xbf1a4643, v159
	v_fma_f32 v159, 0xbf1a4643, v210, -v159
	v_add_f32_e32 v52, v52, v158
	v_mul_f32_e32 v158, 0x3f3d2fb0, v64
	v_add_f32_e32 v156, v53, v156
	v_add_f32_e32 v153, v53, v153
	;; [unrolled: 1-line block ×12, first 2 shown]
	v_fmamk_f32 v53, v165, 0xbf2c7751, v158
	v_mul_f32_e32 v180, 0x3f06c442, v166
	v_mul_f32_e32 v210, 0xbf1a4643, v149
	v_mul_f32_e32 v231, 0xbf4c4adb, v193
	v_mul_f32_e32 v229, 0x3ee437d1, v58
	v_add_f32_e32 v52, v53, v52
	v_fmamk_f32 v53, v57, 0xbf59a7d5, v180
	v_mul_f32_e32 v230, 0x3dbcf732, v64
	v_mul_f32_e32 v232, 0x3f65296c, v166
	v_mul_f32_e32 v233, 0xbf1a4643, v66
	v_mul_f32_e32 v234, 0xbf7ee86f, v167
	v_add_f32_e32 v53, v53, v175
	v_mul_f32_e32 v175, 0x3ee437d1, v66
	v_mul_f32_e32 v235, 0x3f6eb680, v68
	v_mul_f32_e32 v236, 0x3f4c4adb, v169
	v_mul_f32_e32 v237, 0xbf7ba420, v70
	v_mul_f32_e32 v238, 0xbeb8f4ab, v172
	v_fmamk_f32 v181, v168, 0x3f65296c, v175
	v_mul_f32_e32 v239, 0x3f3d2fb0, v76
	v_mul_f32_e32 v240, 0xbe3c28d5, v189
	v_mul_f32_e32 v241, 0x3f2c7751, v191
	v_mul_f32_e32 v242, 0xbe8c1d8e, v149
	v_add_f32_e32 v52, v181, v52
	v_mul_f32_e32 v181, 0x3f2c7751, v167
	v_mul_f32_e32 v227, 0xbf59a7d5, v64
	v_mul_f32_e32 v228, 0x3eb8f4ab, v166
	v_mul_f32_e32 v243, 0x3f3d2fb0, v66
	v_mul_f32_e32 v244, 0xbf06c442, v167
	;; [unrolled: 11-line block ×3, first 2 shown]
	v_fmamk_f32 v183, v170, 0x3e3c28d5, v182
	v_fmac_f32_e32 v171, 0x3f06c442, v154
	v_fmac_f32_e32 v158, 0x3f2c7751, v165
	v_fmac_f32_e32 v175, 0xbf65296c, v168
	v_fmac_f32_e32 v182, 0xbe3c28d5, v170
	v_add_f32_e32 v52, v183, v52
	v_mul_f32_e32 v183, 0xbf65296c, v169
	v_fmamk_f32 v184, v65, 0x3ee437d1, v183
	v_add_f32_e32 v53, v184, v53
	v_mul_f32_e32 v184, 0x3dbcf732, v70
	v_fmamk_f32 v185, v173, 0xbf7ee86f, v184
	v_fmac_f32_e32 v184, 0x3f7ee86f, v173
	v_add_f32_e32 v52, v185, v52
	v_mul_f32_e32 v185, 0xbe3c28d5, v172
	v_fmamk_f32 v186, v67, 0xbf7ba420, v185
	v_add_f32_e32 v53, v186, v53
	v_mul_f32_e32 v186, 0x3f6eb680, v76
	v_fmamk_f32 v187, v188, 0x3eb8f4ab, v186
	v_fmac_f32_e32 v186, 0xbeb8f4ab, v188
	v_add_f32_e32 v52, v187, v52
	v_mul_f32_e32 v187, 0x3f7ee86f, v189
	v_fmamk_f32 v192, v69, 0x3dbcf732, v187
	v_add_f32_e32 v53, v192, v53
	v_mul_f32_e32 v192, 0xbeb8f4ab, v191
	v_mul_f32_e32 v191, 0xbe3c28d5, v191
	v_fmamk_f32 v208, v71, 0x3f6eb680, v192
	v_add_f32_e32 v208, v208, v53
	v_fmamk_f32 v53, v190, 0x3f4c4adb, v210
	v_fmac_f32_e32 v210, 0xbf4c4adb, v190
	v_add_f32_e32 v53, v53, v52
	v_fmamk_f32 v52, v79, 0xbf1a4643, v231
	v_add_f32_e32 v52, v52, v208
	v_fmamk_f32 v208, v154, 0xbf65296c, v229
	v_fmac_f32_e32 v229, 0x3f65296c, v154
	v_add_f32_e32 v156, v208, v156
	v_fmamk_f32 v208, v165, 0x3f7ee86f, v230
	v_fmac_f32_e32 v230, 0xbf7ee86f, v165
	v_add_f32_e32 v156, v208, v156
	v_fmamk_f32 v208, v57, 0x3ee437d1, v232
	v_add_f32_e32 v174, v208, v174
	v_fmamk_f32 v208, v168, 0xbf4c4adb, v233
	v_fmac_f32_e32 v233, 0x3f4c4adb, v168
	v_add_f32_e32 v156, v208, v156
	v_fmamk_f32 v208, v59, 0x3dbcf732, v234
	;; [unrolled: 5-line block ×5, first 2 shown]
	v_add_f32_e32 v174, v208, v174
	v_fmamk_f32 v208, v71, 0x3f3d2fb0, v241
	v_add_f32_e32 v174, v208, v174
	v_fmamk_f32 v208, v190, 0x3f763a35, v242
	v_fmac_f32_e32 v242, 0xbf763a35, v190
	v_add_f32_e32 v209, v208, v156
	v_mul_f32_e32 v156, 0xbf763a35, v193
	v_fmamk_f32 v208, v79, 0xbe8c1d8e, v156
	v_add_f32_e32 v208, v208, v174
	v_mul_f32_e32 v174, 0x3f6eb680, v58
	v_fmamk_f32 v225, v154, 0xbeb8f4ab, v174
	v_fmac_f32_e32 v174, 0x3eb8f4ab, v154
	v_add_f32_e32 v153, v225, v153
	v_fmamk_f32 v225, v165, 0x3f06c442, v227
	v_add_f32_e32 v152, v174, v152
	v_fmac_f32_e32 v227, 0xbf06c442, v165
	v_mul_f32_e32 v174, 0xbe3c28d5, v188
	v_add_f32_e32 v153, v225, v153
	v_fmamk_f32 v225, v57, 0x3f6eb680, v228
	v_add_f32_e32 v152, v227, v152
	v_add_f32_e32 v162, v225, v162
	v_fmamk_f32 v225, v168, 0xbf2c7751, v243
	v_fmac_f32_e32 v243, 0x3f2c7751, v168
	v_add_f32_e32 v153, v225, v153
	v_fmamk_f32 v225, v59, 0xbf59a7d5, v244
	v_add_f32_e32 v152, v243, v152
	v_add_f32_e32 v162, v225, v162
	v_fmamk_f32 v225, v170, 0x3f4c4adb, v245
	v_fmac_f32_e32 v245, 0xbf4c4adb, v170
	;; [unrolled: 6-line block ×3, first 2 shown]
	v_add_f32_e32 v153, v225, v153
	v_fmamk_f32 v225, v67, 0xbf1a4643, v248
	v_add_f32_e32 v152, v247, v152
	v_add_f32_e32 v162, v225, v162
	v_fmamk_f32 v225, v69, 0x3ee437d1, v249
	v_add_f32_e32 v162, v225, v162
	v_fmamk_f32 v225, v188, 0x3f763a35, v250
	v_fmac_f32_e32 v250, 0xbf763a35, v188
	v_add_f32_e32 v153, v225, v153
	v_fmamk_f32 v225, v71, 0xbe8c1d8e, v251
	v_add_f32_e32 v152, v250, v152
	v_add_f32_e32 v162, v225, v162
	v_fmamk_f32 v225, v190, 0xbf7ee86f, v252
	v_fmac_f32_e32 v252, 0x3f7ee86f, v190
	v_add_f32_e32 v226, v225, v153
	v_mul_f32_e32 v153, 0x3f7ee86f, v193
	v_mul_f32_e32 v193, 0x3f65296c, v193
	v_fmamk_f32 v225, v79, 0x3dbcf732, v153
	v_fma_f32 v153, 0x3dbcf732, v79, -v153
	v_add_f32_e32 v225, v225, v162
	v_fma_f32 v162, 0x3f6eb680, v57, -v228
	v_add_f32_e32 v228, v252, v152
	v_add_f32_e32 v152, v229, v155
	v_fma_f32 v155, 0x3dbcf732, v59, -v234
	v_mul_f32_e32 v234, 0xbf2c7751, v189
	v_add_f32_e32 v161, v162, v161
	v_fma_f32 v162, 0xbf59a7d5, v59, -v244
	v_add_f32_e32 v152, v230, v152
	v_add_f32_e32 v161, v162, v161
	v_fma_f32 v162, 0x3f3d2fb0, v65, -v246
	v_add_f32_e32 v152, v233, v152
	v_mul_f32_e32 v233, 0x3f7ee86f, v172
	v_add_f32_e32 v161, v162, v161
	v_fma_f32 v162, 0xbf1a4643, v67, -v248
	v_add_f32_e32 v152, v235, v152
	v_mul_f32_e32 v235, 0x3f65296c, v190
	v_add_f32_e32 v161, v162, v161
	v_fma_f32 v162, 0x3ee437d1, v69, -v249
	v_add_f32_e32 v152, v237, v152
	v_add_f32_e32 v161, v162, v161
	v_fma_f32 v162, 0xbe8c1d8e, v71, -v251
	v_add_f32_e32 v152, v239, v152
	v_add_f32_e32 v161, v162, v161
	;; [unrolled: 1-line block ×3, first 2 shown]
	v_mul_f32_e32 v152, 0x3f763a35, v154
	v_fma_f32 v154, 0xbf59a7d5, v57, -v180
	v_add_f32_e32 v227, v153, v161
	v_fma_f32 v153, 0x3ee437d1, v57, -v232
	v_mul_f32_e32 v232, 0xbf06c442, v169
	v_add_f32_e32 v154, v154, v164
	v_add_f32_e32 v153, v153, v163
	;; [unrolled: 1-line block ×3, first 2 shown]
	v_fma_f32 v155, 0xbf1a4643, v65, -v236
	v_add_f32_e32 v153, v155, v153
	v_fma_f32 v155, 0x3f6eb680, v67, -v238
	v_add_f32_e32 v153, v155, v153
	;; [unrolled: 2-line block ×5, first 2 shown]
	v_fmamk_f32 v153, v58, 0xbe8c1d8e, v152
	v_mul_f32_e32 v155, 0xbeb8f4ab, v165
	v_add_f32_e32 v153, v153, v160
	v_fmamk_f32 v156, v64, 0x3f6eb680, v155
	v_add_f32_e32 v153, v156, v153
	v_mul_f32_e32 v156, 0xbf06c442, v168
	v_fmamk_f32 v160, v66, 0xbf59a7d5, v156
	v_add_f32_e32 v153, v160, v153
	v_mul_f32_e32 v160, 0x3f7ee86f, v170
	;; [unrolled: 3-line block ×4, first 2 shown]
	v_fmamk_f32 v166, v76, 0xbf7ba420, v174
	v_fma_f32 v163, 0xbe8c1d8e, v57, -v162
	v_add_f32_e32 v153, v166, v153
	v_fmac_f32_e32 v162, 0xbe8c1d8e, v57
	v_add_f32_e32 v163, v163, v176
	v_mul_f32_e32 v176, 0xbeb8f4ab, v167
	v_fma_f32 v166, 0x3f6eb680, v59, -v176
	v_fmac_f32_e32 v176, 0x3f6eb680, v59
	v_add_f32_e32 v163, v166, v163
	v_fma_f32 v166, 0xbf59a7d5, v65, -v232
	v_fmac_f32_e32 v232, 0xbf59a7d5, v65
	v_add_f32_e32 v163, v166, v163
	;; [unrolled: 3-line block ×5, first 2 shown]
	v_fmamk_f32 v166, v149, 0x3ee437d1, v235
	v_add_f32_e32 v167, v166, v153
	v_fma_f32 v153, 0x3ee437d1, v79, -v193
	v_fmac_f32_e32 v193, 0x3ee437d1, v79
	v_add_f32_e32 v166, v153, v163
	v_add_f32_e32 v153, v171, v157
	v_fma_f32 v157, 0x3f3d2fb0, v59, -v181
	v_add_f32_e32 v153, v158, v153
	v_add_f32_e32 v154, v157, v154
	v_fma_f32 v157, 0x3ee437d1, v65, -v183
	;; [unrolled: 3-line block ×4, first 2 shown]
	v_add_f32_e32 v153, v184, v153
	v_add_f32_e32 v154, v157, v154
	;; [unrolled: 1-line block ×3, first 2 shown]
	v_fma_f32 v157, 0x3f6eb680, v71, -v192
	v_add_f32_e32 v169, v210, v153
	v_mul_f32_e32 v153, 0xbf7ba420, v58
	v_add_f32_e32 v154, v157, v154
	v_fma_f32 v157, 0xbf1a4643, v79, -v231
	v_add_f32_e32 v153, v223, v153
	v_add_f32_e32 v168, v157, v154
	v_mul_f32_e32 v154, 0xbf7ba420, v57
	v_add_f32_e32 v121, v153, v121
	v_mul_f32_e32 v153, 0xbe8c1d8e, v64
	v_sub_f32_e32 v154, v154, v217
	v_add_f32_e32 v153, v224, v153
	v_add_f32_e32 v124, v154, v124
	v_mul_f32_e32 v154, 0xbe8c1d8e, v59
	v_add_f32_e32 v121, v153, v121
	v_mul_f32_e32 v153, 0x3f6eb680, v66
	v_sub_f32_e32 v154, v154, v216
	;; [unrolled: 6-line block ×5, first 2 shown]
	v_add_f32_e32 v153, v219, v153
	v_add_f32_e32 v124, v154, v124
	v_mul_f32_e32 v154, 0x3f3d2fb0, v149
	v_add_f32_e32 v121, v153, v121
	v_mul_f32_e32 v153, 0xbf1a4643, v71
	v_add_f32_e32 v154, v218, v154
	v_sub_f32_e32 v153, v153, v212
	v_add_f32_e32 v173, v154, v121
	v_mul_f32_e32 v121, 0xbf1a4643, v58
	v_add_f32_e32 v124, v153, v124
	v_mul_f32_e32 v153, 0x3f3d2fb0, v79
	v_add_f32_e32 v121, v202, v121
	v_sub_f32_e32 v153, v153, v211
	v_add_f32_e32 v121, v121, v125
	v_mul_f32_e32 v125, 0xbf1a4643, v57
	v_add_f32_e32 v172, v153, v124
	v_mul_f32_e32 v124, 0xbf7ba420, v64
	v_sub_f32_e32 v125, v125, v194
	v_add_f32_e32 v124, v203, v124
	v_add_f32_e32 v121, v124, v121
	v_mul_f32_e32 v124, 0xbe8c1d8e, v66
	v_add_f32_e32 v124, v205, v124
	v_add_f32_e32 v121, v124, v121
	v_mul_f32_e32 v124, 0x3f3d2fb0, v68
	v_add_f32_e32 v124, v207, v124
	v_add_f32_e32 v121, v124, v121
	;; [unrolled: 1-line block ×3, first 2 shown]
	v_mul_f32_e32 v125, 0xbf7ba420, v59
	v_mul_f32_e32 v127, 0x3f6eb680, v70
	v_sub_f32_e32 v125, v125, v195
	v_add_f32_e32 v127, v206, v127
	v_add_f32_e32 v124, v125, v124
	v_mul_f32_e32 v125, 0xbe8c1d8e, v65
	v_add_f32_e32 v121, v127, v121
	v_mul_f32_e32 v127, 0x3dbcf732, v76
	v_sub_f32_e32 v125, v125, v196
	v_add_f32_e32 v127, v204, v127
	v_add_f32_e32 v124, v125, v124
	v_mul_f32_e32 v125, 0x3f3d2fb0, v67
	v_add_f32_e32 v121, v127, v121
	;; [unrolled: 6-line block ×3, first 2 shown]
	buffer_load_dword v127, off, s[20:23], 0 offset:80 ; 4-byte Folded Reload
	v_mul_f32_e32 v121, 0x3dbcf732, v58
	v_sub_f32_e32 v125, v125, v198
	v_add_f32_e32 v124, v125, v124
	v_mul_f32_e32 v125, 0x3dbcf732, v71
	v_sub_f32_e32 v125, v125, v199
	v_add_f32_e32 v124, v125, v124
	;; [unrolled: 3-line block ×3, first 2 shown]
	s_clause 0x1
	buffer_load_dword v124, off, s[20:23], 0 offset:108
	buffer_load_dword v125, off, s[20:23], 0 offset:116
	s_waitcnt vmcnt(1)
	v_add_f32_e32 v121, v124, v121
	v_mul_f32_e32 v124, 0xbf1a4643, v64
	v_add_f32_e32 v121, v121, v128
	buffer_load_dword v128, off, s[20:23], 0 offset:84 ; 4-byte Folded Reload
	s_waitcnt vmcnt(1)
	v_add_f32_e32 v124, v125, v124
	v_mul_f32_e32 v125, 0x3dbcf732, v57
	v_add_f32_e32 v121, v124, v121
	v_sub_f32_e32 v125, v125, v127
	buffer_load_dword v127, off, s[20:23], 0 offset:120 ; 4-byte Folded Reload
	v_mul_f32_e32 v124, 0xbf7ba420, v66
	v_add_f32_e32 v125, v125, v129
	buffer_load_dword v129, off, s[20:23], 0 offset:48 ; 4-byte Folded Reload
	s_waitcnt vmcnt(1)
	v_add_f32_e32 v124, v127, v124
	v_mul_f32_e32 v127, 0xbf1a4643, v59
	v_add_f32_e32 v121, v124, v121
	v_sub_f32_e32 v127, v127, v128
	buffer_load_dword v128, off, s[20:23], 0 offset:124 ; 4-byte Folded Reload
	v_mul_f32_e32 v124, 0xbf59a7d5, v68
	v_add_f32_e32 v125, v127, v125
	v_mul_f32_e32 v127, 0xbf7ba420, v65
	s_waitcnt vmcnt(0)
	v_add_f32_e32 v124, v128, v124
	buffer_load_dword v128, off, s[20:23], 0 offset:88 ; 4-byte Folded Reload
	v_add_f32_e32 v121, v124, v121
	v_mul_f32_e32 v124, 0xbe8c1d8e, v70
	s_waitcnt vmcnt(0)
	v_sub_f32_e32 v127, v127, v128
	buffer_load_dword v128, off, s[20:23], 0 offset:128 ; 4-byte Folded Reload
	v_add_f32_e32 v125, v127, v125
	v_mul_f32_e32 v127, 0xbf59a7d5, v67
	s_waitcnt vmcnt(0)
	v_add_f32_e32 v124, v128, v124
	buffer_load_dword v128, off, s[20:23], 0 offset:92 ; 4-byte Folded Reload
	v_add_f32_e32 v121, v124, v121
	v_mul_f32_e32 v124, 0x3ee437d1, v76
	s_waitcnt vmcnt(0)
	v_sub_f32_e32 v127, v127, v128
	buffer_load_dword v128, off, s[20:23], 0 offset:132 ; 4-byte Folded Reload
	v_add_f32_e32 v125, v127, v125
	v_mul_f32_e32 v127, 0xbe8c1d8e, v69
	s_waitcnt vmcnt(0)
	v_add_f32_e32 v124, v128, v124
	buffer_load_dword v128, off, s[20:23], 0 offset:96 ; 4-byte Folded Reload
	v_add_f32_e32 v121, v124, v121
	s_waitcnt vmcnt(0)
	v_sub_f32_e32 v127, v127, v128
	buffer_load_dword v128, off, s[20:23], 0 offset:112 ; 4-byte Folded Reload
	v_add_f32_e32 v124, v127, v125
	buffer_load_dword v127, off, s[20:23], 0 offset:100 ; 4-byte Folded Reload
	v_mul_f32_e32 v125, 0x3ee437d1, v71
	s_waitcnt vmcnt(0)
	v_sub_f32_e32 v125, v125, v127
	v_mul_f32_e32 v127, 0x3f6eb680, v149
	v_add_f32_e32 v124, v125, v124
	v_add_f32_e32 v127, v128, v127
	buffer_load_dword v128, off, s[20:23], 0 offset:104 ; 4-byte Folded Reload
	v_mul_f32_e32 v125, 0x3f6eb680, v79
	v_add_f32_e32 v171, v127, v121
	v_mul_f32_e32 v121, 0x3f3d2fb0, v58
	v_fma_f32 v58, 0xbe8c1d8e, v58, -v152
	buffer_load_dword v127, off, s[20:23], 0 offset:64 ; 4-byte Folded Reload
	v_add_f32_e32 v58, v58, v159
	s_waitcnt vmcnt(1)
	v_sub_f32_e32 v125, v125, v128
	v_mul_f32_e32 v128, 0x3ee437d1, v59
	v_add_f32_e32 v170, v125, v124
	s_clause 0x1
	buffer_load_dword v124, off, s[20:23], 0 offset:76
	buffer_load_dword v125, off, s[20:23], 0 offset:72
	s_waitcnt vmcnt(1)
	v_add_f32_e32 v121, v124, v121
	v_mul_f32_e32 v124, 0x3ee437d1, v64
	v_fma_f32 v64, 0x3f6eb680, v64, -v155
	v_add_f32_e32 v121, v121, v150
	s_waitcnt vmcnt(0)
	v_add_f32_e32 v124, v125, v124
	v_mul_f32_e32 v125, 0x3f3d2fb0, v57
	v_add_f32_e32 v58, v64, v58
	v_add_f32_e32 v121, v124, v121
	v_sub_f32_e32 v125, v125, v127
	buffer_load_dword v127, off, s[20:23], 0 offset:68 ; 4-byte Folded Reload
	v_mul_f32_e32 v124, 0x3dbcf732, v66
	v_add_f32_e32 v125, v125, v151
	s_waitcnt vmcnt(0)
	v_add_f32_e32 v124, v127, v124
	v_add_f32_e32 v127, v177, v144
	;; [unrolled: 1-line block ×4, first 2 shown]
	buffer_load_dword v143, off, s[20:23], 0 offset:52 ; 4-byte Folded Reload
	v_sub_f32_e32 v128, v128, v129
	v_mul_f32_e32 v129, 0xbe8c1d8e, v68
	v_add_f32_e32 v127, v178, v148
	v_add_f32_e32 v124, v124, v142
	buffer_load_dword v142, off, s[20:23], 0 offset:56 ; 4-byte Folded Reload
	v_add_f32_e32 v125, v128, v125
	v_mul_f32_e32 v128, 0x3dbcf732, v65
	v_add_f32_e32 v127, v127, v147
	v_add_f32_e32 v124, v124, v141
	buffer_load_dword v141, off, s[20:23], 0 offset:36 ; 4-byte Folded Reload
	v_add_f32_e32 v127, v127, v146
	v_add_f32_e32 v124, v124, v140
	buffer_load_dword v140, off, s[20:23], 0 offset:24 ; 4-byte Folded Reload
	v_add_f32_e32 v127, v127, v145
	v_add_f32_e32 v124, v124, v139
	;; [unrolled: 1-line block ×3, first 2 shown]
	buffer_load_dword v127, off, s[20:23], 0 offset:28 ; 4-byte Folded Reload
	v_add_f32_e32 v124, v124, v138
	v_add_f32_e32 v74, v75, v74
	v_mul_f32_e32 v75, 0xbf59a7d5, v71
	v_add_f32_e32 v124, v124, v136
	v_add_f32_e32 v73, v74, v73
	v_mul_f32_e32 v74, 0xbf7ba420, v149
	;; [unrolled: 3-line block ×3, first 2 shown]
	v_add_f32_e32 v57, v124, v135
	v_add_f32_e32 v63, v72, v63
	;; [unrolled: 1-line block ×5, first 2 shown]
	v_fma_f32 v63, 0xbf59a7d5, v66, -v156
	v_add_f32_e32 v64, v176, v72
	v_add_f32_e32 v59, v59, v133
	;; [unrolled: 1-line block ×4, first 2 shown]
	v_fma_f32 v62, 0x3dbcf732, v68, -v160
	v_add_f32_e32 v63, v232, v64
	v_add_f32_e32 v59, v59, v132
	v_add_f32_e32 v60, v61, v60
	v_fma_f32 v61, 0x3f3d2fb0, v70, -v161
	v_add_f32_e32 v58, v62, v58
	v_add_f32_e32 v62, v233, v63
	v_add_f32_e32 v59, v59, v131
	v_add_f32_e32 v56, v60, v56
	v_fma_f32 v60, 0xbf7ba420, v76, -v174
	v_add_f32_e32 v58, v61, v58
	;; [unrolled: 5-line block ×3, first 2 shown]
	v_add_f32_e32 v61, v191, v61
	v_add_f32_e32 v58, v55, v54
	buffer_load_dword v54, off, s[20:23], 0 ; 4-byte Folded Reload
	v_add_f32_e32 v55, v62, v60
	ds_write_b64 v120, v[58:59]
	s_waitcnt vmcnt(5)
	v_add_f32_e32 v129, v143, v129
	buffer_load_dword v143, off, s[20:23], 0 offset:40 ; 4-byte Folded Reload
	v_add_f32_e32 v121, v129, v121
	v_mul_f32_e32 v129, 0xbf1a4643, v70
	s_waitcnt vmcnt(5)
	v_add_f32_e32 v129, v142, v129
	v_add_f32_e32 v121, v129, v121
	v_mul_f32_e32 v129, 0xbf59a7d5, v76
	s_waitcnt vmcnt(2)
	v_sub_f32_e32 v75, v75, v127
	buffer_load_dword v127, off, s[20:23], 0 offset:44 ; 4-byte Folded Reload
	s_waitcnt vmcnt(2)
	v_lshl_add_u32 v63, v119, 3, v54
	v_add_f32_e32 v54, v193, v61
	v_add_nc_u32_e32 v58, 0x800, v63
	v_add_nc_u32_e32 v59, 0x1800, v63
	s_waitcnt vmcnt(1)
	v_sub_f32_e32 v128, v128, v143
	v_add_f32_e32 v125, v128, v125
	v_mul_f32_e32 v128, 0xbe8c1d8e, v67
	v_sub_f32_e32 v128, v128, v141
	buffer_load_dword v141, off, s[20:23], 0 offset:60 ; 4-byte Folded Reload
	v_add_f32_e32 v125, v128, v125
	v_mul_f32_e32 v128, 0xbf1a4643, v69
	v_sub_f32_e32 v128, v128, v140
	v_add_f32_e32 v125, v128, v125
	v_add_f32_e32 v75, v75, v125
	buffer_load_dword v125, off, s[20:23], 0 offset:32 ; 4-byte Folded Reload
	s_waitcnt vmcnt(2)
	v_add_f32_e32 v74, v127, v74
	s_waitcnt vmcnt(1)
	v_add_f32_e32 v129, v141, v129
	v_add_f32_e32 v121, v129, v121
	;; [unrolled: 1-line block ×3, first 2 shown]
	s_waitcnt vmcnt(0)
	v_sub_f32_e32 v73, v73, v125
	v_add_f32_e32 v56, v73, v75
	ds_write2_b64 v63, v[56:57], v[170:171] offset0:52 offset1:104
	ds_write2_b64 v63, v[188:189], v[172:173] offset0:156 offset1:208
	v_add_nc_u32_e32 v56, 0xc00, v63
	v_add_nc_u32_e32 v57, 0x1000, v63
	ds_write2_b64 v58, v[168:169], v[166:167] offset0:4 offset1:56
	ds_write2_b64 v58, v[229:230], v[227:228] offset0:108 offset1:160
	;; [unrolled: 1-line block ×6, first 2 shown]
.LBB0_9:
	s_or_b32 exec_lo, exec_lo, s1
	v_add_co_u32 v52, s1, 0x1ba0, v122
	v_add_co_ci_u32_e64 v53, s1, 0, v123, s1
	v_add_co_u32 v54, s1, 0x2000, v122
	v_add_co_ci_u32_e64 v55, s1, 0, v123, s1
	;; [unrolled: 2-line block ×3, first 2 shown]
	s_waitcnt lgkmcnt(0)
	s_waitcnt_vscnt null, 0x0
	s_barrier
	buffer_gl0_inv
	s_clause 0x7
	global_load_dwordx2 v[107:108], v[107:108], off offset:928
	global_load_dwordx2 v[130:131], v[52:53], off offset:544
	;; [unrolled: 1-line block ×8, first 2 shown]
	v_add_co_u32 v52, s1, 0x3000, v122
	v_add_co_ci_u32_e64 v53, s1, 0, v123, s1
	s_clause 0x4
	global_load_dwordx2 v[144:145], v[56:57], off offset:1184
	global_load_dwordx2 v[146:147], v[56:57], off offset:1728
	;; [unrolled: 1-line block ×5, first 2 shown]
	buffer_load_dword v56, off, s[20:23], 0 ; 4-byte Folded Reload
	ds_read2_b64 v[52:55], v120 offset1:68
	v_add_nc_u32_e32 v121, 0x400, v120
	v_add_nc_u32_e32 v72, 0x800, v120
	v_add_nc_u32_e32 v124, 0xc00, v120
	v_add_nc_u32_e32 v123, 0x1000, v120
	v_add_nc_u32_e32 v122, 0x1400, v120
	ds_read2_b64 v[60:63], v72 offset0:84 offset1:152
	ds_read2_b64 v[64:67], v124 offset0:92 offset1:160
	s_waitcnt vmcnt(13) lgkmcnt(2)
	v_mul_f32_e32 v125, v53, v108
	v_mul_f32_e32 v157, v52, v108
	s_waitcnt vmcnt(8) lgkmcnt(1)
	v_mul_f32_e32 v128, v61, v139
	s_waitcnt vmcnt(7)
	v_mul_f32_e32 v129, v63, v141
	s_waitcnt vmcnt(6) lgkmcnt(0)
	v_mul_f32_e32 v158, v65, v143
	v_fma_f32 v156, v52, v107, -v125
	v_fmac_f32_e32 v157, v53, v107
	v_mul_f32_e32 v52, v55, v131
	v_mul_f32_e32 v53, v54, v131
	s_waitcnt vmcnt(5)
	v_mul_f32_e32 v159, v67, v145
	s_waitcnt vmcnt(0)
	v_lshl_add_u32 v79, v119, 3, v56
	ds_read2_b64 v[56:59], v121 offset0:8 offset1:144
	v_fma_f32 v52, v54, v130, -v52
	v_fmac_f32_e32 v53, v55, v130
	ds_read_b64 v[154:155], v79 offset:1632
	ds_read2_b64 v[68:71], v123 offset0:100 offset1:168
	ds_read2_b64 v[73:76], v122 offset0:108 offset1:176
	s_waitcnt lgkmcnt(3)
	v_mul_f32_e32 v107, v57, v133
	v_mul_f32_e32 v108, v56, v133
	;; [unrolled: 1-line block ×4, first 2 shown]
	s_waitcnt lgkmcnt(2)
	v_mul_f32_e32 v125, v155, v135
	v_mul_f32_e32 v131, v154, v135
	;; [unrolled: 1-line block ×6, first 2 shown]
	s_waitcnt lgkmcnt(1)
	v_mul_f32_e32 v160, v69, v147
	v_mul_f32_e32 v143, v68, v147
	;; [unrolled: 1-line block ×4, first 2 shown]
	s_waitcnt lgkmcnt(0)
	v_mul_f32_e32 v162, v74, v151
	v_mul_f32_e32 v147, v73, v151
	;; [unrolled: 1-line block ×4, first 2 shown]
	v_fma_f32 v130, v154, v134, -v125
	v_fmac_f32_e32 v131, v155, v134
	v_fma_f32 v107, v56, v132, -v107
	v_fmac_f32_e32 v108, v57, v132
	;; [unrolled: 2-line block ×11, first 2 shown]
	ds_write2_b64 v120, v[156:157], v[52:53] offset1:68
	ds_write_b64 v79, v[130:131] offset:1632
	ds_write2_b64 v121, v[107:108], v[132:133] offset0:8 offset1:144
	ds_write2_b64 v72, v[134:135], v[136:137] offset0:84 offset1:152
	ds_write2_b64 v124, v[138:139], v[140:141] offset0:92 offset1:160
	ds_write2_b64 v123, v[142:143], v[144:145] offset0:100 offset1:168
	ds_write2_b64 v122, v[146:147], v[148:149] offset0:108 offset1:176
	s_waitcnt lgkmcnt(0)
	s_barrier
	buffer_gl0_inv
	ds_read2_b64 v[68:71], v120 offset1:68
	ds_read2_b64 v[60:63], v122 offset0:108 offset1:176
	ds_read2_b64 v[73:76], v121 offset0:8 offset1:144
	ds_read_b64 v[107:108], v79 offset:1632
	ds_read2_b64 v[64:67], v123 offset0:100 offset1:168
	ds_read2_b64 v[52:55], v72 offset0:84 offset1:152
	;; [unrolled: 1-line block ×3, first 2 shown]
	s_waitcnt lgkmcnt(0)
	s_barrier
	buffer_gl0_inv
	v_add_f32_e32 v121, v68, v70
	v_add_f32_e32 v124, v69, v71
	v_add_f32_e32 v128, v60, v73
	v_add_f32_e32 v129, v61, v74
	v_sub_f32_e32 v130, v73, v60
	v_sub_f32_e32 v131, v74, v61
	v_add_f32_e32 v73, v121, v73
	v_add_f32_e32 v74, v124, v74
	;; [unrolled: 1-line block ×4, first 2 shown]
	v_sub_f32_e32 v142, v52, v58
	v_add_f32_e32 v73, v73, v107
	v_add_f32_e32 v74, v74, v108
	v_sub_f32_e32 v143, v53, v59
	v_add_f32_e32 v127, v63, v71
	v_sub_f32_e32 v71, v71, v63
	v_add_f32_e32 v73, v73, v75
	v_add_f32_e32 v74, v74, v76
	;; [unrolled: 1-line block ×3, first 2 shown]
	v_sub_f32_e32 v70, v70, v62
	v_mul_f32_e32 v121, 0xbeedf032, v71
	v_add_f32_e32 v52, v73, v52
	v_add_f32_e32 v53, v74, v53
	v_mul_f32_e32 v124, 0x3f62ad3f, v127
	v_mul_f32_e32 v145, 0x3f116cb1, v127
	v_add_f32_e32 v132, v66, v107
	v_add_f32_e32 v52, v52, v54
	;; [unrolled: 1-line block ×4, first 2 shown]
	v_sub_f32_e32 v134, v107, v66
	v_sub_f32_e32 v135, v108, v67
	v_add_f32_e32 v52, v52, v56
	v_add_f32_e32 v53, v53, v57
	v_mul_f32_e32 v144, 0xbf52af12, v71
	v_mul_f32_e32 v146, 0xbf7e222b, v71
	;; [unrolled: 1-line block ×12, first 2 shown]
	v_fmamk_f32 v107, v125, 0x3f62ad3f, v121
	v_fmamk_f32 v108, v70, 0x3eedf032, v124
	v_fma_f32 v121, 0x3f62ad3f, v125, -v121
	v_fmac_f32_e32 v124, 0xbeedf032, v70
	v_fmamk_f32 v187, v70, 0x3f52af12, v145
	v_add_f32_e32 v52, v52, v58
	v_add_f32_e32 v53, v53, v59
	v_add_f32_e32 v136, v64, v75
	v_add_f32_e32 v137, v65, v76
	v_sub_f32_e32 v138, v75, v64
	v_sub_f32_e32 v139, v76, v65
	v_mul_f32_e32 v154, 0xbf6f5d39, v131
	v_mul_f32_e32 v156, 0xbe750f2a, v131
	v_mul_f32_e32 v157, 0xbf788fa5, v129
	v_mul_f32_e32 v158, 0x3f29c268, v131
	v_mul_f32_e32 v159, 0xbf3f9e67, v129
	v_mul_f32_e32 v160, 0x3f7e222b, v131
	v_mul_f32_e32 v161, 0x3df6dbef, v129
	v_mul_f32_e32 v131, 0x3eedf032, v131
	v_mul_f32_e32 v129, 0x3f62ad3f, v129
	v_mul_f32_e32 v162, 0xbf7e222b, v135
	v_mul_f32_e32 v163, 0x3df6dbef, v133
	v_mul_f32_e32 v165, 0xbf788fa5, v133
	v_fmamk_f32 v186, v125, 0x3f116cb1, v144
	v_fma_f32 v144, 0x3f116cb1, v125, -v144
	v_fmac_f32_e32 v145, 0xbf52af12, v70
	v_fmamk_f32 v188, v125, 0x3df6dbef, v146
	v_fmamk_f32 v189, v70, 0x3f7e222b, v147
	v_fma_f32 v146, 0x3df6dbef, v125, -v146
	v_fmac_f32_e32 v147, 0xbf7e222b, v70
	v_fmamk_f32 v190, v125, 0xbeb58ec6, v148
	;; [unrolled: 4-line block ×6, first 2 shown]
	v_add_f32_e32 v75, v68, v107
	v_add_f32_e32 v76, v69, v108
	;; [unrolled: 1-line block ×7, first 2 shown]
	v_mul_f32_e32 v164, 0xbe750f2a, v135
	v_mul_f32_e32 v166, 0x3f6f5d39, v135
	;; [unrolled: 1-line block ×12, first 2 shown]
	v_fmamk_f32 v196, v128, 0xbeb58ec6, v154
	v_fma_f32 v154, 0xbeb58ec6, v128, -v154
	v_fmac_f32_e32 v155, 0xbf6f5d39, v130
	v_fmamk_f32 v198, v128, 0xbf788fa5, v156
	v_fmamk_f32 v199, v130, 0x3e750f2a, v157
	v_fma_f32 v156, 0xbf788fa5, v128, -v156
	v_fmac_f32_e32 v157, 0xbe750f2a, v130
	v_fmamk_f32 v200, v128, 0xbf3f9e67, v158
	;; [unrolled: 4-line block ×6, first 2 shown]
	v_add_f32_e32 v121, v68, v186
	v_add_f32_e32 v144, v68, v144
	;; [unrolled: 1-line block ×25, first 2 shown]
	v_mul_f32_e32 v174, 0x3f29c268, v139
	v_mul_f32_e32 v176, 0x3eedf032, v139
	;; [unrolled: 1-line block ×12, first 2 shown]
	v_fmamk_f32 v206, v132, 0xbf788fa5, v164
	v_fma_f32 v164, 0xbf788fa5, v132, -v164
	v_fmac_f32_e32 v165, 0xbe750f2a, v134
	v_fmamk_f32 v208, v132, 0xbeb58ec6, v166
	v_fmamk_f32 v209, v134, 0xbf6f5d39, v167
	v_fma_f32 v166, 0xbeb58ec6, v132, -v166
	v_fmac_f32_e32 v167, 0x3f6f5d39, v134
	v_fmamk_f32 v210, v132, 0x3f62ad3f, v168
	v_fmamk_f32 v211, v134, 0xbeedf032, v169
	v_fma_f32 v168, 0x3f62ad3f, v132, -v168
	v_fmac_f32_e32 v169, 0x3eedf032, v134
	v_fmamk_f32 v212, v132, 0x3f116cb1, v170
	v_fmamk_f32 v213, v134, 0x3f52af12, v171
	v_fma_f32 v170, 0x3f116cb1, v132, -v170
	v_fmac_f32_e32 v171, 0xbf52af12, v134
	v_fmamk_f32 v214, v132, 0xbf3f9e67, v135
	v_fmamk_f32 v215, v134, 0x3f29c268, v133
	v_fma_f32 v132, 0xbf3f9e67, v132, -v135
	v_fmac_f32_e32 v133, 0xbf29c268, v134
	v_fmamk_f32 v134, v136, 0xbeb58ec6, v172
	v_fmamk_f32 v135, v138, 0x3f6f5d39, v173
	v_fma_f32 v172, 0xbeb58ec6, v136, -v172
	v_fmac_f32_e32 v173, 0xbf6f5d39, v138
	v_fmamk_f32 v217, v138, 0xbf29c268, v175
	v_add_f32_e32 v70, v70, v75
	v_add_f32_e32 v75, v196, v121
	;; [unrolled: 1-line block ×12, first 2 shown]
	v_mul_f32_e32 v184, 0x3f7e222b, v143
	v_fmamk_f32 v216, v136, 0xbf3f9e67, v174
	v_fma_f32 v174, 0xbf3f9e67, v136, -v174
	v_fmac_f32_e32 v175, 0x3f29c268, v138
	v_fmamk_f32 v218, v136, 0x3f62ad3f, v176
	v_fmamk_f32 v219, v138, 0xbeedf032, v177
	v_fma_f32 v176, 0x3f62ad3f, v136, -v176
	v_fmac_f32_e32 v177, 0x3eedf032, v138
	v_fmamk_f32 v220, v136, 0x3df6dbef, v178
	;; [unrolled: 4-line block ×5, first 2 shown]
	v_fmamk_f32 v139, v142, 0x3f29c268, v183
	v_fma_f32 v182, 0xbf3f9e67, v140, -v182
	v_fmac_f32_e32 v183, 0xbf29c268, v142
	v_add_f32_e32 v124, v199, v187
	v_add_f32_e32 v125, v156, v146
	;; [unrolled: 1-line block ×17, first 2 shown]
	v_fmamk_f32 v62, v142, 0xbf7e222b, v185
	v_mul_f32_e32 v63, 0xbf52af12, v143
	v_fmamk_f32 v226, v140, 0x3df6dbef, v184
	v_add_f32_e32 v145, v201, v189
	v_add_f32_e32 v146, v158, v148
	;; [unrolled: 1-line block ×16, first 2 shown]
	v_fma_f32 v71, 0x3df6dbef, v140, -v184
	v_fmac_f32_e32 v185, 0x3f7e222b, v142
	v_add_f32_e32 v62, v62, v76
	v_fmamk_f32 v73, v140, 0x3f116cb1, v63
	v_mul_f32_e32 v74, 0x3f116cb1, v141
	v_mul_f32_e32 v76, 0x3e750f2a, v143
	v_add_f32_e32 v147, v159, v149
	v_add_f32_e32 v148, v202, v190
	;; [unrolled: 1-line block ×15, first 2 shown]
	v_fmamk_f32 v107, v142, 0x3f52af12, v74
	v_fma_f32 v63, 0x3f116cb1, v140, -v63
	v_fmac_f32_e32 v74, 0xbf52af12, v142
	v_fmamk_f32 v108, v140, 0xbf788fa5, v76
	v_mul_f32_e32 v121, 0xbf788fa5, v141
	v_add_f32_e32 v150, v160, v150
	v_add_f32_e32 v152, v204, v192
	;; [unrolled: 1-line block ×11, first 2 shown]
	v_fmamk_f32 v107, v142, 0xbe750f2a, v121
	v_mul_f32_e32 v108, 0x3eedf032, v143
	v_fma_f32 v76, 0xbf788fa5, v140, -v76
	v_mul_f32_e32 v127, 0x3f62ad3f, v141
	v_add_f32_e32 v153, v205, v193
	v_add_f32_e32 v146, v170, v150
	;; [unrolled: 1-line block ×6, first 2 shown]
	v_fmac_f32_e32 v121, 0x3e750f2a, v142
	v_add_f32_e32 v128, v107, v129
	v_fmamk_f32 v107, v140, 0x3f62ad3f, v108
	v_add_f32_e32 v76, v76, v130
	v_fmamk_f32 v129, v142, 0xbeedf032, v127
	v_mul_f32_e32 v130, 0xbf6f5d39, v143
	v_add_f32_e32 v149, v215, v153
	v_add_f32_e32 v132, v180, v146
	;; [unrolled: 1-line block ×5, first 2 shown]
	v_fma_f32 v58, 0x3f62ad3f, v140, -v108
	v_add_f32_e32 v129, v129, v59
	v_fmamk_f32 v59, v140, 0xbeb58ec6, v130
	v_mul_f32_e32 v107, 0xbeb58ec6, v141
	v_sub_f32_e32 v134, v55, v57
	v_add_f32_e32 v137, v57, v55
	v_add_f32_e32 v151, v161, v151
	;; [unrolled: 1-line block ×5, first 2 shown]
	v_fmamk_f32 v58, v142, 0x3f6f5d39, v107
	v_add_f32_e32 v136, v56, v54
	v_mul_f32_e32 v59, 0xbe750f2a, v134
	v_fma_f32 v55, 0xbeb58ec6, v140, -v130
	v_sub_f32_e32 v130, v54, v56
	v_mul_f32_e32 v56, 0xbf788fa5, v137
	v_add_f32_e32 v147, v171, v151
	v_fmac_f32_e32 v107, 0xbf6f5d39, v142
	v_fmamk_f32 v54, v136, 0xbf788fa5, v59
	v_add_f32_e32 v133, v58, v133
	v_add_f32_e32 v138, v55, v66
	v_fmamk_f32 v55, v130, 0x3e750f2a, v56
	v_mul_f32_e32 v57, 0x3eedf032, v134
	v_fma_f32 v58, 0xbf788fa5, v136, -v59
	v_mul_f32_e32 v59, 0x3f62ad3f, v137
	v_add_f32_e32 v64, v181, v147
	v_fmac_f32_e32 v127, 0x3eedf032, v142
	v_add_f32_e32 v139, v107, v67
	v_fmac_f32_e32 v56, 0xbe750f2a, v130
	v_add_f32_e32 v55, v55, v60
	v_fmamk_f32 v60, v136, 0x3f62ad3f, v57
	v_add_f32_e32 v107, v58, v61
	v_fmamk_f32 v58, v130, 0xbeedf032, v59
	v_mul_f32_e32 v61, 0xbf29c268, v134
	v_add_f32_e32 v127, v127, v64
	v_add_f32_e32 v108, v56, v69
	;; [unrolled: 1-line block ×3, first 2 shown]
	v_fma_f32 v60, 0x3f62ad3f, v136, -v57
	v_add_f32_e32 v57, v58, v62
	v_fmamk_f32 v62, v136, 0xbf3f9e67, v61
	v_mul_f32_e32 v64, 0xbf3f9e67, v137
	v_mul_f32_e32 v65, 0x3f52af12, v134
	v_add_f32_e32 v54, v54, v68
	v_add_f32_e32 v58, v60, v71
	;; [unrolled: 1-line block ×3, first 2 shown]
	v_fmamk_f32 v62, v130, 0x3f29c268, v64
	v_fma_f32 v66, 0xbf3f9e67, v136, -v61
	v_fmac_f32_e32 v64, 0xbf29c268, v130
	v_fmamk_f32 v67, v136, 0x3f116cb1, v65
	v_mul_f32_e32 v68, 0x3f116cb1, v137
	v_fmac_f32_e32 v59, 0x3eedf032, v130
	v_add_f32_e32 v61, v62, v124
	v_add_f32_e32 v62, v66, v63
	;; [unrolled: 1-line block ×4, first 2 shown]
	v_fmamk_f32 v66, v130, 0xbf52af12, v68
	v_mul_f32_e32 v69, 0xbf6f5d39, v134
	v_fma_f32 v67, 0x3f116cb1, v136, -v65
	v_mul_f32_e32 v71, 0xbeb58ec6, v137
	v_add_f32_e32 v59, v59, v75
	v_fmac_f32_e32 v68, 0x3f52af12, v130
	v_add_f32_e32 v65, v66, v128
	v_fmamk_f32 v70, v136, 0xbeb58ec6, v69
	v_add_f32_e32 v66, v67, v76
	v_fmamk_f32 v73, v130, 0x3f6f5d39, v71
	v_fma_f32 v74, 0xbeb58ec6, v136, -v69
	v_mul_f32_e32 v75, 0x3f7e222b, v134
	v_mul_f32_e32 v76, 0x3df6dbef, v137
	v_add_f32_e32 v67, v68, v121
	v_add_f32_e32 v68, v70, v131
	;; [unrolled: 1-line block ×4, first 2 shown]
	v_fmamk_f32 v73, v136, 0x3df6dbef, v75
	v_fmamk_f32 v74, v130, 0xbf7e222b, v76
	v_fma_f32 v75, 0x3df6dbef, v136, -v75
	v_fmac_f32_e32 v76, 0x3f7e222b, v130
	v_fmac_f32_e32 v71, 0xbf6f5d39, v130
	v_add_f32_e32 v73, v73, v135
	v_add_f32_e32 v74, v74, v133
	;; [unrolled: 1-line block ×5, first 2 shown]
	ds_write2_b64 v126, v[52:53], v[54:55] offset1:1
	ds_write2_b64 v126, v[56:57], v[60:61] offset0:2 offset1:3
	ds_write2_b64 v126, v[64:65], v[68:69] offset0:4 offset1:5
	;; [unrolled: 1-line block ×5, first 2 shown]
	ds_write_b64 v126, v[107:108] offset:96
	s_waitcnt lgkmcnt(0)
	s_barrier
	buffer_gl0_inv
	ds_read2_b64 v[57:60], v120 offset1:68
	ds_read2_b64 v[53:56], v120 offset0:136 offset1:221
	ds_read2_b64 v[73:76], v72 offset0:186 offset1:254
	;; [unrolled: 1-line block ×5, first 2 shown]
	s_and_saveexec_b32 s1, vcc_lo
	s_cbranch_execz .LBB0_11
; %bb.10:
	v_add_nc_u32_e32 v48, 0xd00, v120
	ds_read2_b64 v[48:51], v48 offset0:9 offset1:230
	ds_read_b64 v[107:108], v79 offset:1632
	ds_read_b64 v[117:118], v120 offset:6936
.LBB0_11:
	s_or_b32 exec_lo, exec_lo, s1
	s_waitcnt lgkmcnt(4)
	v_mul_f32_e32 v52, v25, v56
	v_mul_f32_e32 v25, v25, v55
	s_waitcnt lgkmcnt(3)
	v_mul_f32_e32 v121, v27, v74
	v_mul_f32_e32 v27, v27, v73
	s_waitcnt lgkmcnt(2)
	v_mul_f32_e32 v122, v116, v64
	v_fmac_f32_e32 v52, v24, v55
	v_fma_f32 v24, v24, v56, -v25
	v_fmac_f32_e32 v121, v26, v73
	v_fma_f32 v25, v26, v74, -v27
	v_fmac_f32_e32 v122, v115, v63
	v_mul_f32_e32 v26, v116, v63
	s_waitcnt lgkmcnt(1)
	v_mul_f32_e32 v27, v21, v70
	v_mul_f32_e32 v21, v21, v69
	;; [unrolled: 1-line block ×7, first 2 shown]
	v_fma_f32 v26, v115, v64, -v26
	v_fmac_f32_e32 v27, v20, v69
	v_fma_f32 v20, v20, v70, -v21
	v_fmac_f32_e32 v55, v22, v75
	v_fma_f32 v21, v22, v76, -v23
	s_waitcnt lgkmcnt(0)
	v_mul_f32_e32 v22, v114, v66
	v_fmac_f32_e32 v56, v16, v71
	v_fma_f32 v16, v16, v72, -v17
	v_fmac_f32_e32 v63, v18, v61
	v_mul_f32_e32 v17, v19, v61
	v_mul_f32_e32 v61, v112, v67
	;; [unrolled: 1-line block ×5, first 2 shown]
	v_fmac_f32_e32 v22, v113, v65
	v_fma_f32 v17, v18, v62, -v17
	v_fma_f32 v18, v111, v68, -v61
	;; [unrolled: 1-line block ×3, first 2 shown]
	v_mul_f32_e32 v62, v11, v51
	v_sub_f32_e32 v49, v58, v25
	v_fma_f32 v23, v113, v66, -v23
	v_mul_f32_e32 v11, v11, v50
	v_sub_f32_e32 v55, v59, v55
	v_fmac_f32_e32 v62, v10, v50
	v_fma_f32 v9, v58, 2.0, -v49
	v_mul_f32_e32 v50, v110, v118
	v_sub_f32_e32 v58, v27, v22
	v_fmac_f32_e32 v64, v8, v48
	v_sub_f32_e32 v48, v57, v121
	v_sub_f32_e32 v65, v52, v122
	v_sub_f32_e32 v26, v24, v26
	v_fma_f32 v51, v10, v51, -v11
	v_fmac_f32_e32 v50, v109, v117
	v_sub_f32_e32 v66, v60, v21
	v_sub_f32_e32 v22, v20, v23
	v_fma_f32 v23, v59, 2.0, -v55
	v_fma_f32 v11, v27, 2.0, -v58
	;; [unrolled: 1-line block ×7, first 2 shown]
	v_sub_f32_e32 v20, v23, v11
	v_sub_f32_e32 v60, v53, v63
	;; [unrolled: 1-line block ×5, first 2 shown]
	v_fma_f32 v52, v23, 2.0, -v20
	v_sub_f32_e32 v23, v66, v58
	v_sub_f32_e32 v58, v107, v62
	v_fma_f32 v62, v64, 2.0, -v63
	s_barrier
	buffer_gl0_inv
	buffer_load_dword v64, off, s[20:23], 0 offset:20 ; 4-byte Folded Reload
	v_add_f32_e32 v26, v48, v26
	v_sub_f32_e32 v27, v49, v65
	v_fma_f32 v8, v8, 2.0, -v24
	v_fma_f32 v9, v9, 2.0, -v25
	v_mul_f32_e32 v19, v112, v68
	v_fma_f32 v10, v48, 2.0, -v26
	v_fma_f32 v11, v49, 2.0, -v27
	v_sub_f32_e32 v21, v59, v21
	v_sub_f32_e32 v65, v54, v17
	v_fmac_f32_e32 v19, v111, v67
	v_add_f32_e32 v22, v55, v22
	v_fma_f32 v17, v53, 2.0, -v60
	v_fma_f32 v53, v59, 2.0, -v21
	v_mul_f32_e32 v57, v110, v117
	v_sub_f32_e32 v19, v56, v19
	v_sub_f32_e32 v18, v16, v18
	;; [unrolled: 1-line block ×3, first 2 shown]
	s_waitcnt vmcnt(0)
	ds_write2_b64 v64, v[8:9], v[10:11] offset1:13
	ds_write2_b64 v64, v[24:25], v[26:27] offset0:26 offset1:39
	buffer_load_dword v64, off, s[20:23], 0 offset:16 ; 4-byte Folded Reload
	v_fma_f32 v48, v56, 2.0, -v19
	v_fma_f32 v56, v54, 2.0, -v65
	;; [unrolled: 1-line block ×4, first 2 shown]
	v_fma_f32 v57, v109, v118, -v57
	v_fma_f32 v16, v16, 2.0, -v18
	v_add_f32_e32 v50, v60, v18
	v_fma_f32 v66, v107, 2.0, -v58
	v_fma_f32 v67, v108, 2.0, -v59
	v_sub_f32_e32 v57, v61, v57
	v_sub_f32_e32 v48, v17, v48
	v_sub_f32_e32 v49, v56, v16
	v_sub_f32_e32 v51, v65, v19
	v_fma_f32 v18, v60, 2.0, -v50
	v_fma_f32 v61, v61, 2.0, -v57
	v_sub_f32_e32 v60, v66, v62
	v_add_f32_e32 v62, v58, v57
	v_sub_f32_e32 v63, v59, v63
	v_fma_f32 v16, v17, 2.0, -v48
	v_sub_f32_e32 v61, v67, v61
	v_fma_f32 v17, v56, 2.0, -v49
	v_fma_f32 v19, v65, 2.0, -v51
	;; [unrolled: 1-line block ×6, first 2 shown]
	s_waitcnt vmcnt(0)
	ds_write2_b64 v64, v[52:53], v[54:55] offset1:13
	ds_write2_b64 v64, v[20:21], v[22:23] offset0:26 offset1:39
	buffer_load_dword v64, off, s[20:23], 0 offset:12 ; 4-byte Folded Reload
	s_waitcnt vmcnt(0)
	ds_write2_b64 v64, v[16:17], v[18:19] offset1:13
	ds_write2_b64 v64, v[48:49], v[50:51] offset0:26 offset1:39
	s_and_saveexec_b32 s1, vcc_lo
	s_cbranch_execz .LBB0_13
; %bb.12:
	s_clause 0x1
	buffer_load_dword v64, off, s[20:23], 0 offset:4
	buffer_load_dword v65, off, s[20:23], 0 offset:8
	s_waitcnt vmcnt(0)
	v_mad_u16 v64, v64, 52, v65
	buffer_load_dword v65, off, s[20:23], 0 ; 4-byte Folded Reload
	v_and_b32_e32 v64, 0xffff, v64
	s_waitcnt vmcnt(0)
	v_lshl_add_u32 v64, v64, 3, v65
	ds_write2_b64 v64, v[56:57], v[58:59] offset1:13
	ds_write2_b64 v64, v[60:61], v[62:63] offset0:26 offset1:39
.LBB0_13:
	s_or_b32 exec_lo, exec_lo, s1
	s_waitcnt lgkmcnt(0)
	s_barrier
	buffer_gl0_inv
	s_and_saveexec_b32 s1, s0
	s_cbranch_execz .LBB0_15
; %bb.14:
	v_add_nc_u32_e32 v16, 0x400, v120
	v_add_nc_u32_e32 v17, 0x800, v120
	;; [unrolled: 1-line block ×4, first 2 shown]
	ds_read2_b64 v[8:11], v120 offset1:52
	ds_read2_b64 v[24:27], v120 offset0:104 offset1:156
	ds_read2_b64 v[52:55], v16 offset0:80 offset1:132
	;; [unrolled: 1-line block ×7, first 2 shown]
	ds_read_b64 v[77:78], v120 offset:6656
.LBB0_15:
	s_or_b32 exec_lo, exec_lo, s1
	s_and_saveexec_b32 s1, s0
	s_cbranch_execz .LBB0_17
; %bb.16:
	s_waitcnt lgkmcnt(8)
	v_mul_f32_e32 v65, v37, v11
	s_waitcnt lgkmcnt(0)
	v_mul_f32_e32 v64, v47, v78
	v_mul_f32_e32 v66, v47, v77
	;; [unrolled: 1-line block ×4, first 2 shown]
	v_fmac_f32_e32 v65, v36, v10
	v_fmac_f32_e32 v64, v46, v77
	v_mul_f32_e32 v37, v45, v63
	v_fma_f32 v46, v46, v78, -v66
	v_fma_f32 v66, v36, v11, -v67
	v_mul_f32_e32 v10, v45, v62
	v_mul_f32_e32 v11, v39, v24
	v_sub_f32_e32 v36, v65, v64
	v_fmac_f32_e32 v47, v38, v24
	v_fmac_f32_e32 v37, v44, v62
	v_fma_f32 v39, v44, v63, -v10
	v_fma_f32 v62, v38, v25, -v11
	v_mul_f32_e32 v44, v29, v27
	v_mul_f32_e32 v38, v43, v61
	;; [unrolled: 1-line block ×3, first 2 shown]
	v_add_f32_e32 v67, v46, v66
	v_sub_f32_e32 v24, v47, v37
	v_fmac_f32_e32 v44, v28, v26
	v_fmac_f32_e32 v38, v42, v60
	v_mul_f32_e32 v43, v43, v60
	v_mul_f32_e32 v26, v29, v26
	;; [unrolled: 1-line block ×4, first 2 shown]
	v_fmamk_f32 v10, v67, 0x3ee437d1, v112
	v_mul_f32_e32 v113, 0xbf4c4adb, v24
	v_add_f32_e32 v63, v39, v62
	v_sub_f32_e32 v25, v44, v38
	v_fma_f32 v42, v42, v61, -v43
	v_fma_f32 v60, v28, v27, -v26
	v_fmac_f32_e32 v45, v30, v52
	v_fmac_f32_e32 v29, v40, v58
	v_mul_f32_e32 v27, v41, v58
	v_mul_f32_e32 v28, v31, v52
	v_add_f32_e32 v10, v9, v10
	v_fmamk_f32 v11, v63, 0xbf1a4643, v113
	v_mul_f32_e32 v115, 0x3e3c28d5, v25
	v_add_f32_e32 v68, v42, v60
	v_sub_f32_e32 v26, v45, v29
	v_fma_f32 v41, v40, v59, -v27
	v_fma_f32 v58, v30, v53, -v28
	v_add_f32_e32 v10, v11, v10
	v_fmamk_f32 v11, v68, 0xbf7ba420, v115
	v_mul_f32_e32 v114, 0x3f763a35, v26
	v_mul_f32_e32 v52, v13, v55
	v_add_f32_e32 v69, v41, v58
	v_mul_f32_e32 v13, v13, v54
	v_add_f32_e32 v10, v11, v10
	v_mul_f32_e32 v40, v35, v57
	v_sub_f32_e32 v76, v66, v46
	v_fmamk_f32 v11, v69, 0xbe8c1d8e, v114
	v_fmac_f32_e32 v52, v12, v54
	v_mul_f32_e32 v54, v15, v21
	v_fmac_f32_e32 v40, v34, v56
	v_mul_f32_e32 v43, v33, v51
	v_add_f32_e32 v10, v11, v10
	v_mul_f32_e32 v11, v35, v56
	v_mul_f32_e32 v126, 0xbf65296c, v76
	v_sub_f32_e32 v78, v62, v39
	v_sub_f32_e32 v27, v52, v40
	v_fmac_f32_e32 v54, v14, v20
	v_fma_f32 v53, v34, v57, -v11
	v_fma_f32 v57, v12, v55, -v13
	v_mul_f32_e32 v55, v1, v23
	v_mul_f32_e32 v1, v1, v22
	v_fmac_f32_e32 v43, v32, v50
	v_mul_f32_e32 v11, v33, v50
	v_mul_f32_e32 v12, v15, v20
	;; [unrolled: 1-line block ×3, first 2 shown]
	v_fma_f32 v71, v0, v23, -v1
	v_add_f32_e32 v23, v64, v65
	v_fmac_f32_e32 v55, v0, v22
	v_mul_f32_e32 v7, v7, v48
	v_add_f32_e32 v28, v37, v47
	v_mul_f32_e32 v127, 0xbf4c4adb, v78
	v_fma_f32 v0, 0x3ee437d1, v23, -v126
	v_sub_f32_e32 v74, v60, v42
	v_mul_f32_e32 v117, 0x3f2c7751, v27
	v_add_f32_e32 v61, v53, v57
	v_sub_f32_e32 v20, v54, v43
	v_fma_f32 v51, v32, v51, -v11
	v_fma_f32 v56, v14, v21, -v12
	v_fmac_f32_e32 v50, v6, v48
	v_fma_f32 v49, v6, v49, -v7
	v_mul_f32_e32 v59, v3, v17
	v_mul_f32_e32 v48, v5, v19
	v_add_f32_e32 v0, v8, v0
	v_fma_f32 v6, 0xbf1a4643, v28, -v127
	v_add_f32_e32 v30, v38, v44
	v_mul_f32_e32 v121, 0x3e3c28d5, v74
	v_sub_f32_e32 v75, v58, v41
	v_fmamk_f32 v11, v61, 0x3f3d2fb0, v117
	v_mul_f32_e32 v118, 0xbeb8f4ab, v20
	v_add_f32_e32 v70, v51, v56
	v_sub_f32_e32 v21, v55, v50
	v_fmac_f32_e32 v59, v2, v16
	v_fmac_f32_e32 v48, v4, v18
	v_mul_f32_e32 v5, v5, v18
	v_mul_f32_e32 v3, v3, v16
	v_add_f32_e32 v0, v6, v0
	v_fma_f32 v6, 0xbf7ba420, v30, -v121
	v_add_f32_e32 v31, v29, v45
	v_mul_f32_e32 v122, 0x3f763a35, v75
	v_sub_f32_e32 v77, v57, v53
	v_add_f32_e32 v10, v11, v10
	v_fmamk_f32 v11, v70, 0x3f6eb680, v118
	v_mul_f32_e32 v116, 0xbf7ee86f, v21
	v_add_f32_e32 v72, v49, v71
	v_sub_f32_e32 v22, v59, v48
	v_fma_f32 v73, v4, v19, -v5
	v_fma_f32 v108, v2, v17, -v3
	v_add_f32_e32 v0, v6, v0
	v_fma_f32 v2, 0xbe8c1d8e, v31, -v122
	v_add_f32_e32 v32, v40, v52
	v_mul_f32_e32 v124, 0x3f2c7751, v77
	v_sub_f32_e32 v109, v56, v51
	v_add_f32_e32 v10, v11, v10
	v_fmamk_f32 v1, v72, 0x3dbcf732, v116
	v_mul_f32_e32 v123, 0xbf06c442, v22
	v_add_f32_e32 v107, v73, v108
	v_add_f32_e32 v0, v2, v0
	v_fma_f32 v2, 0x3f3d2fb0, v32, -v124
	v_add_f32_e32 v33, v43, v54
	v_mul_f32_e32 v125, 0xbeb8f4ab, v109
	v_mul_f32_e32 v19, 0xbf7ee86f, v36
	v_add_f32_e32 v1, v1, v10
	v_fmamk_f32 v3, v107, 0xbf59a7d5, v123
	v_add_f32_e32 v0, v2, v0
	v_fma_f32 v2, 0x3f6eb680, v33, -v125
	v_fmamk_f32 v4, v67, 0x3dbcf732, v19
	v_mul_f32_e32 v138, 0xbe3c28d5, v24
	v_sub_f32_e32 v111, v71, v49
	v_add_f32_e32 v1, v3, v1
	v_add_f32_e32 v0, v2, v0
	v_add_f32_e32 v2, v9, v4
	v_fmamk_f32 v3, v63, 0xbf7ba420, v138
	v_mul_f32_e32 v140, 0x3f763a35, v25
	v_add_f32_e32 v34, v50, v55
	v_mul_f32_e32 v129, 0xbf7ee86f, v111
	v_sub_f32_e32 v110, v108, v73
	v_add_f32_e32 v2, v3, v2
	v_fmamk_f32 v3, v68, 0xbe8c1d8e, v140
	v_mul_f32_e32 v18, 0x3eb8f4ab, v26
	v_fma_f32 v4, 0x3dbcf732, v34, -v129
	v_add_f32_e32 v35, v48, v59
	v_mul_f32_e32 v128, 0xbf06c442, v110
	v_add_f32_e32 v2, v3, v2
	v_fmamk_f32 v3, v69, 0x3f6eb680, v18
	v_mul_f32_e32 v132, 0xbf65296c, v27
	v_add_f32_e32 v0, v4, v0
	v_fma_f32 v4, 0xbf59a7d5, v35, -v128
	v_mul_f32_e32 v142, 0xbf7ee86f, v76
	v_add_f32_e32 v2, v3, v2
	v_fmamk_f32 v3, v61, 0x3ee437d1, v132
	v_mul_f32_e32 v139, 0xbf06c442, v20
	v_add_f32_e32 v0, v4, v0
	v_fma_f32 v4, 0x3dbcf732, v23, -v142
	;; [unrolled: 6-line block ×27, first 2 shown]
	v_mul_f32_e32 v181, 0x3f2c7751, v75
	v_mul_f32_e32 v182, 0xbf763a35, v110
	v_add_f32_e32 v6, v170, v6
	v_fmamk_f32 v170, v72, 0xbe8c1d8e, v180
	v_add_f32_e32 v167, v178, v167
	v_fma_f32 v178, 0x3f3d2fb0, v31, -v181
	v_mul_f32_e32 v183, 0xbf4c4adb, v77
	v_mul_f32_e32 v185, 0x3f7ee86f, v22
	v_fma_f32 v184, 0xbe8c1d8e, v35, -v182
	v_add_f32_e32 v170, v170, v6
	v_add_f32_e32 v167, v178, v167
	v_fma_f32 v178, 0xbf1a4643, v32, -v183
	v_mul_f32_e32 v186, 0x3f65296c, v109
	v_fmamk_f32 v187, v107, 0x3dbcf732, v185
	v_fma_f32 v166, 0xbf7ba420, v67, -v166
	v_add_f32_e32 v6, v184, v11
	v_add_f32_e32 v167, v178, v167
	v_fma_f32 v178, 0x3ee437d1, v33, -v186
	v_add_f32_e32 v11, v187, v170
	v_mul_f32_e32 v170, 0xbf763a35, v111
	v_add_f32_e32 v166, v9, v166
	v_fma_f32 v10, 0x3f6eb680, v63, -v10
	v_add_f32_e32 v167, v178, v167
	v_fmac_f32_e32 v174, 0xbf7ba420, v23
	v_fma_f32 v178, 0xbe8c1d8e, v34, -v170
	v_mul_f32_e32 v184, 0x3f7ee86f, v110
	v_add_f32_e32 v10, v10, v166
	v_fma_f32 v166, 0xbf59a7d5, v68, -v171
	v_add_f32_e32 v171, v8, v174
	v_fmac_f32_e32 v176, 0x3f6eb680, v28
	v_add_f32_e32 v167, v178, v167
	v_fma_f32 v174, 0x3dbcf732, v35, -v184
	v_add_f32_e32 v166, v166, v10
	v_fma_f32 v173, 0x3f3d2fb0, v69, -v173
	v_fma_f32 v12, 0xbf59a7d5, v67, -v12
	v_add_f32_e32 v171, v176, v171
	v_fmac_f32_e32 v179, 0xbf59a7d5, v30
	v_add_f32_e32 v10, v174, v167
	v_add_f32_e32 v166, v173, v166
	v_fma_f32 v167, 0xbf1a4643, v61, -v175
	v_add_f32_e32 v12, v9, v12
	v_fma_f32 v13, 0x3ee437d1, v63, -v13
	v_add_f32_e32 v171, v179, v171
	v_fmac_f32_e32 v181, 0x3f3d2fb0, v31
	v_add_f32_e32 v166, v167, v166
	v_fma_f32 v167, 0x3ee437d1, v70, -v177
	v_add_f32_e32 v12, v13, v12
	v_fma_f32 v13, 0x3dbcf732, v68, -v14
	v_add_f32_e32 v171, v181, v171
	v_fmac_f32_e32 v183, 0xbf1a4643, v32
	;; [unrolled: 6-line block ×3, first 2 shown]
	v_add_f32_e32 v14, v166, v14
	v_fma_f32 v15, 0x3dbcf732, v107, -v185
	v_fmac_f32_e32 v159, 0xbf59a7d5, v23
	v_add_f32_e32 v12, v13, v12
	v_fma_f32 v144, 0x3f6eb680, v61, -v144
	v_add_f32_e32 v166, v186, v167
	v_fmac_f32_e32 v170, 0xbe8c1d8e, v34
	v_add_f32_e32 v159, v8, v159
	v_fmac_f32_e32 v161, 0x3ee437d1, v28
	v_add_f32_e32 v13, v15, v14
	v_add_f32_e32 v12, v144, v12
	v_fma_f32 v14, 0xbf7ba420, v70, -v160
	v_add_f32_e32 v15, v170, v166
	v_add_f32_e32 v144, v161, v159
	v_fmac_f32_e32 v163, 0x3dbcf732, v30
	v_fmac_f32_e32 v184, 0x3dbcf732, v35
	v_add_f32_e32 v14, v14, v12
	v_fma_f32 v159, 0x3f3d2fb0, v72, -v162
	v_mul_f32_e32 v160, 0xbf1a4643, v67
	v_add_f32_e32 v144, v163, v144
	v_fmac_f32_e32 v165, 0xbf1a4643, v31
	v_add_f32_e32 v12, v184, v15
	v_add_f32_e32 v14, v159, v14
	v_fmamk_f32 v15, v36, 0x3f4c4adb, v160
	v_mul_f32_e32 v159, 0xbe8c1d8e, v63
	v_add_f32_e32 v144, v165, v144
	v_fmac_f32_e32 v168, 0x3f6eb680, v32
	v_fma_f32 v161, 0xbe8c1d8e, v107, -v164
	v_add_f32_e32 v162, v9, v15
	v_fmamk_f32 v163, v24, 0xbf763a35, v159
	v_mul_f32_e32 v164, 0x3f6eb680, v68
	v_add_f32_e32 v165, v168, v144
	v_fmac_f32_e32 v169, 0xbf7ba420, v33
	v_add_f32_e32 v15, v161, v14
	v_add_f32_e32 v14, v163, v162
	v_fmamk_f32 v161, v25, 0x3eb8f4ab, v164
	v_mul_f32_e32 v144, 0xbf59a7d5, v69
	v_mul_f32_e32 v163, 0xbf4c4adb, v76
	v_add_f32_e32 v162, v169, v165
	v_fmac_f32_e32 v172, 0x3f3d2fb0, v34
	v_add_f32_e32 v14, v161, v14
	v_fmamk_f32 v161, v26, 0x3f06c442, v144
	v_mul_f32_e32 v165, 0x3dbcf732, v61
	v_fmamk_f32 v166, v23, 0xbf1a4643, v163
	v_mul_f32_e32 v167, 0x3f763a35, v78
	v_add_f32_e32 v162, v172, v162
	v_add_f32_e32 v14, v161, v14
	v_fmamk_f32 v161, v27, 0xbf7ee86f, v165
	v_mul_f32_e32 v168, 0x3f3d2fb0, v70
	v_add_f32_e32 v166, v8, v166
	v_fmamk_f32 v169, v28, 0xbe8c1d8e, v167
	v_mul_f32_e32 v170, 0xbeb8f4ab, v74
	v_fmac_f32_e32 v182, 0xbe8c1d8e, v35
	v_add_f32_e32 v161, v161, v14
	v_fmamk_f32 v171, v20, 0x3f2c7751, v168
	v_add_f32_e32 v166, v169, v166
	v_fmamk_f32 v169, v30, 0x3f6eb680, v170
	v_mul_f32_e32 v172, 0xbf06c442, v75
	v_add_f32_e32 v14, v182, v162
	v_mul_f32_e32 v162, 0xbf7ba420, v72
	v_add_f32_e32 v161, v171, v161
	v_add_f32_e32 v166, v169, v166
	v_fmamk_f32 v169, v31, 0xbf59a7d5, v172
	v_mul_f32_e32 v171, 0x3f7ee86f, v77
	v_fmamk_f32 v173, v21, 0x3e3c28d5, v162
	v_fma_f32 v16, 0xbe8c1d8e, v67, -v16
	v_mul_f32_e32 v174, 0x3ee437d1, v107
	v_add_f32_e32 v166, v169, v166
	v_fmamk_f32 v169, v32, 0x3dbcf732, v171
	v_mul_f32_e32 v175, 0xbf2c7751, v109
	v_add_f32_e32 v16, v9, v16
	v_fma_f32 v17, 0xbf59a7d5, v63, -v17
	v_add_f32_e32 v161, v173, v161
	v_fmamk_f32 v173, v22, 0xbf65296c, v174
	v_add_f32_e32 v166, v169, v166
	v_fmamk_f32 v169, v33, 0x3f3d2fb0, v175
	v_add_f32_e32 v16, v17, v16
	v_fma_f32 v145, 0x3f3d2fb0, v68, -v145
	v_add_f32_e32 v17, v173, v161
	v_mul_f32_e32 v161, 0xbe3c28d5, v111
	v_fmac_f32_e32 v148, 0xbe8c1d8e, v23
	v_add_f32_e32 v166, v169, v166
	v_add_f32_e32 v16, v145, v16
	v_fma_f32 v145, 0x3ee437d1, v69, -v146
	v_fmamk_f32 v146, v34, 0xbf7ba420, v161
	v_mul_f32_e32 v169, 0x3f65296c, v110
	v_add_f32_e32 v148, v8, v148
	v_fmac_f32_e32 v150, 0xbf59a7d5, v28
	v_add_f32_e32 v16, v145, v16
	v_fma_f32 v145, 0xbf7ba420, v61, -v147
	v_add_f32_e32 v146, v146, v166
	v_fmamk_f32 v147, v35, 0x3ee437d1, v169
	v_add_f32_e32 v148, v150, v148
	v_fmac_f32_e32 v152, 0x3f3d2fb0, v30
	v_add_f32_e32 v145, v145, v16
	v_fma_f32 v19, 0x3dbcf732, v67, -v19
	v_add_f32_e32 v16, v147, v146
	v_fmac_f32_e32 v154, 0x3ee437d1, v31
	v_add_f32_e32 v146, v152, v148
	v_fma_f32 v138, 0xbf7ba420, v63, -v138
	v_add_f32_e32 v19, v9, v19
	v_fmac_f32_e32 v155, 0xbf7ba420, v32
	v_fma_f32 v140, 0xbe8c1d8e, v68, -v140
	v_add_f32_e32 v146, v154, v146
	v_fmac_f32_e32 v156, 0x3dbcf732, v33
	v_add_f32_e32 v138, v138, v19
	v_fmac_f32_e32 v142, 0x3dbcf732, v23
	v_fma_f32 v18, 0x3f6eb680, v69, -v18
	v_add_f32_e32 v146, v155, v146
	v_fmac_f32_e32 v157, 0x3f6eb680, v34
	v_add_f32_e32 v138, v140, v138
	v_add_f32_e32 v142, v8, v142
	v_fmac_f32_e32 v143, 0xbf7ba420, v28
	v_add_f32_e32 v140, v156, v146
	v_fma_f32 v132, 0x3ee437d1, v61, -v132
	v_add_f32_e32 v18, v18, v138
	v_fmac_f32_e32 v133, 0xbe8c1d8e, v30
	v_fma_f32 v139, 0xbf59a7d5, v70, -v139
	v_add_f32_e32 v138, v157, v140
	v_add_f32_e32 v140, v143, v142
	;; [unrolled: 1-line block ×3, first 2 shown]
	v_fma_f32 v112, 0x3ee437d1, v67, -v112
	v_fmac_f32_e32 v134, 0x3f6eb680, v31
	v_fma_f32 v130, 0xbf1a4643, v72, -v130
	v_add_f32_e32 v133, v133, v140
	v_add_f32_e32 v132, v139, v132
	;; [unrolled: 1-line block ×3, first 2 shown]
	v_fma_f32 v113, 0xbf1a4643, v63, -v113
	v_fmac_f32_e32 v141, 0x3ee437d1, v32
	v_add_f32_e32 v133, v134, v133
	v_add_f32_e32 v130, v130, v132
	v_fma_f32 v115, 0xbf7ba420, v68, -v115
	v_add_f32_e32 v112, v113, v112
	v_fmac_f32_e32 v135, 0xbf59a7d5, v33
	v_add_f32_e32 v132, v141, v133
	v_fmac_f32_e32 v126, 0x3ee437d1, v23
	v_fma_f32 v114, 0xbe8c1d8e, v69, -v114
	v_add_f32_e32 v112, v115, v112
	v_fmac_f32_e32 v136, 0xbf1a4643, v34
	v_add_f32_e32 v115, v135, v132
	v_add_f32_e32 v126, v8, v126
	v_fmac_f32_e32 v127, 0xbf1a4643, v28
	v_add_f32_e32 v112, v114, v112
	v_fma_f32 v114, 0x3f3d2fb0, v61, -v117
	v_add_f32_e32 v115, v136, v115
	v_fmac_f32_e32 v137, 0x3f3d2fb0, v35
	v_add_f32_e32 v117, v127, v126
	v_fmac_f32_e32 v121, 0xbf7ba420, v30
	v_add_f32_e32 v114, v114, v112
	v_fma_f32 v118, 0x3f6eb680, v70, -v118
	v_add_f32_e32 v112, v137, v115
	v_mul_f32_e32 v126, 0x3f3d2fb0, v67
	v_add_f32_e32 v115, v121, v117
	v_fmac_f32_e32 v122, 0xbe8c1d8e, v31
	v_add_f32_e32 v114, v118, v114
	v_fma_f32 v116, 0x3dbcf732, v72, -v116
	v_fmamk_f32 v117, v36, 0x3f2c7751, v126
	v_mul_f32_e32 v118, 0x3dbcf732, v63
	v_add_f32_e32 v115, v122, v115
	v_fmac_f32_e32 v124, 0x3f3d2fb0, v32
	v_add_f32_e32 v114, v116, v114
	v_add_f32_e32 v116, v9, v117
	v_fmamk_f32 v117, v24, 0x3f7ee86f, v118
	v_mul_f32_e32 v121, 0xbf1a4643, v68
	v_add_f32_e32 v115, v124, v115
	v_fmac_f32_e32 v125, 0x3f6eb680, v33
	v_fma_f32 v122, 0xbf59a7d5, v107, -v123
	v_add_f32_e32 v116, v117, v116
	v_fmamk_f32 v117, v25, 0x3f4c4adb, v121
	v_mul_f32_e32 v123, 0xbf7ba420, v69
	v_add_f32_e32 v124, v125, v115
	v_fmac_f32_e32 v129, 0x3dbcf732, v34
	v_add_f32_e32 v115, v122, v114
	v_add_f32_e32 v114, v117, v116
	v_fmamk_f32 v116, v26, 0x3e3c28d5, v123
	v_mul_f32_e32 v117, 0xbf59a7d5, v61
	v_add_f32_e32 v122, v129, v124
	v_fmac_f32_e32 v128, 0xbf59a7d5, v35
	v_mul_f32_e32 v124, 0xbf2c7751, v76
	v_fma_f32 v131, 0x3f3d2fb0, v107, -v131
	v_add_f32_e32 v116, v116, v114
	v_fmamk_f32 v125, v27, 0xbf06c442, v117
	v_mul_f32_e32 v127, 0xbe8c1d8e, v70
	v_add_f32_e32 v114, v128, v122
	v_fmamk_f32 v122, v23, 0x3f3d2fb0, v124
	v_mul_f32_e32 v128, 0xbf7ee86f, v78
	v_add_f32_e32 v113, v131, v130
	v_add_f32_e32 v116, v125, v116
	v_fmamk_f32 v125, v20, 0xbf763a35, v127
	v_mul_f32_e32 v129, 0x3ee437d1, v72
	v_add_f32_e32 v122, v8, v122
	v_fmamk_f32 v130, v28, 0x3dbcf732, v128
	v_mul_f32_e32 v131, 0xbf4c4adb, v74
	;; [unrolled: 3-line block ×6, first 2 shown]
	v_add_f32_e32 v66, v66, v9
	v_add_f32_e32 v67, v125, v116
	v_fmamk_f32 v116, v36, 0x3eb8f4ab, v134
	v_mul_f32_e32 v63, 0x3f3d2fb0, v63
	v_add_f32_e32 v122, v130, v122
	v_fmamk_f32 v125, v32, 0xbf59a7d5, v135
	v_mul_f32_e32 v130, 0x3f763a35, v109
	v_add_f32_e32 v62, v62, v66
	v_add_f32_e32 v116, v9, v116
	v_fmamk_f32 v136, v24, 0x3f2c7751, v63
	v_mul_f32_e32 v68, 0x3ee437d1, v68
	v_add_f32_e32 v122, v125, v122
	v_fmamk_f32 v125, v33, 0xbe8c1d8e, v130
	v_mul_f32_e32 v137, 0x3f65296c, v111
	v_add_f32_e32 v60, v60, v62
	v_add_f32_e32 v116, v136, v116
	v_fmamk_f32 v136, v25, 0x3f65296c, v68
	v_mul_f32_e32 v69, 0x3dbcf732, v69
	v_add_f32_e32 v122, v125, v122
	v_fmamk_f32 v125, v34, 0x3ee437d1, v137
	v_add_f32_e32 v58, v58, v60
	v_add_f32_e32 v116, v136, v116
	v_fmamk_f32 v136, v26, 0x3f7ee86f, v69
	v_mul_f32_e32 v61, 0xbe8c1d8e, v61
	v_add_f32_e32 v122, v125, v122
	v_mul_f32_e32 v125, 0x3eb8f4ab, v110
	v_add_f32_e32 v57, v57, v58
	v_add_f32_e32 v58, v8, v65
	v_add_f32_e32 v66, v136, v116
	v_fmamk_f32 v116, v27, 0x3f763a35, v61
	v_fmamk_f32 v62, v35, 0x3f6eb680, v125
	v_mul_f32_e32 v76, 0xbeb8f4ab, v76
	v_add_f32_e32 v56, v56, v57
	v_add_f32_e32 v47, v47, v58
	;; [unrolled: 1-line block ×4, first 2 shown]
	v_fmamk_f32 v60, v23, 0x3f6eb680, v76
	v_mul_f32_e32 v62, 0xbf2c7751, v78
	v_add_f32_e32 v56, v71, v56
	v_add_f32_e32 v44, v44, v47
	v_mul_f32_e32 v74, 0xbf65296c, v74
	v_add_f32_e32 v60, v8, v60
	v_fmamk_f32 v65, v28, 0x3f3d2fb0, v62
	v_add_f32_e32 v56, v108, v56
	v_add_f32_e32 v44, v45, v44
	v_mul_f32_e32 v47, 0xbf7ee86f, v75
	v_fmac_f32_e32 v160, 0xbf4c4adb, v36
	v_add_f32_e32 v58, v65, v60
	v_fmamk_f32 v60, v30, 0x3ee437d1, v74
	v_add_f32_e32 v56, v73, v56
	v_add_f32_e32 v44, v52, v44
	v_fmamk_f32 v45, v31, 0x3dbcf732, v47
	v_fmac_f32_e32 v159, 0x3f763a35, v24
	v_add_f32_e32 v58, v60, v58
	v_mul_f32_e32 v60, 0xbf763a35, v77
	v_add_f32_e32 v49, v49, v56
	v_add_f32_e32 v44, v54, v44
	v_fmac_f32_e32 v164, 0xbeb8f4ab, v25
	v_add_f32_e32 v45, v45, v58
	v_fmamk_f32 v52, v32, 0xbe8c1d8e, v60
	v_mul_f32_e32 v58, 0xbf4c4adb, v109
	v_add_f32_e32 v49, v51, v49
	v_add_f32_e32 v44, v55, v44
	v_mul_f32_e32 v55, 0xbf06c442, v111
	v_add_f32_e32 v45, v52, v45
	v_fmamk_f32 v52, v33, 0xbf1a4643, v58
	v_add_f32_e32 v49, v53, v49
	v_add_f32_e32 v44, v59, v44
	v_mul_f32_e32 v53, 0xbe3c28d5, v110
	v_fmac_f32_e32 v144, 0xbf06c442, v26
	v_add_f32_e32 v45, v52, v45
	v_fmamk_f32 v52, v34, 0xbf59a7d5, v55
	v_add_f32_e32 v41, v41, v49
	v_add_f32_e32 v44, v48, v44
	;; [unrolled: 1-line block ×3, first 2 shown]
	v_fmamk_f32 v49, v35, 0xbf7ba420, v53
	v_add_f32_e32 v45, v52, v45
	v_add_f32_e32 v52, v42, v41
	;; [unrolled: 1-line block ×4, first 2 shown]
	v_fmac_f32_e32 v126, 0xbf2c7751, v36
	v_add_f32_e32 v41, v49, v45
	v_add_f32_e32 v39, v39, v52
	;; [unrolled: 1-line block ×4, first 2 shown]
	v_fma_f32 v45, 0xbf1a4643, v23, -v163
	v_fmac_f32_e32 v165, 0x3f7ee86f, v27
	v_add_f32_e32 v39, v46, v39
	v_add_f32_e32 v40, v40, v43
	;; [unrolled: 1-line block ×4, first 2 shown]
	v_fma_f32 v45, 0xbe8c1d8e, v28, -v167
	v_add_f32_e32 v46, v9, v126
	v_fmac_f32_e32 v118, 0xbf7ee86f, v24
	v_add_f32_e32 v29, v29, v40
	v_add_f32_e32 v43, v165, v43
	;; [unrolled: 1-line block ×3, first 2 shown]
	v_fma_f32 v44, 0x3f6eb680, v30, -v170
	v_add_f32_e32 v45, v118, v46
	v_fmac_f32_e32 v121, 0xbf4c4adb, v25
	v_fmac_f32_e32 v168, 0xbf2c7751, v20
	v_add_f32_e32 v29, v38, v29
	v_add_f32_e32 v40, v44, v40
	v_fma_f32 v44, 0xbf59a7d5, v31, -v172
	v_add_f32_e32 v38, v121, v45
	v_fmac_f32_e32 v123, 0xbe3c28d5, v26
	v_add_f32_e32 v43, v168, v43
	v_fmac_f32_e32 v162, 0xbe3c28d5, v21
	v_add_f32_e32 v40, v44, v40
	v_fma_f32 v44, 0x3dbcf732, v32, -v171
	v_add_f32_e32 v38, v123, v38
	v_fmac_f32_e32 v117, 0x3f06c442, v27
	v_add_f32_e32 v29, v37, v29
	v_add_f32_e32 v43, v162, v43
	v_fmac_f32_e32 v174, 0x3f65296c, v22
	v_add_f32_e32 v37, v44, v40
	v_add_f32_e32 v44, v117, v38
	;; [unrolled: 1-line block ×3, first 2 shown]
	v_fmac_f32_e32 v134, 0xbeb8f4ab, v36
	v_add_f32_e32 v29, v174, v43
	v_fma_f32 v43, 0x3f3d2fb0, v23, -v124
	v_fma_f32 v23, 0x3f6eb680, v23, -v76
	v_fmac_f32_e32 v63, 0xbf2c7751, v24
	v_add_f32_e32 v9, v9, v134
	v_fmac_f32_e32 v68, 0xbf65296c, v25
	v_add_f32_e32 v36, v8, v43
	v_add_f32_e32 v8, v8, v23
	v_fma_f32 v23, 0x3f3d2fb0, v28, -v62
	v_fma_f32 v43, 0x3dbcf732, v28, -v128
	;; [unrolled: 1-line block ×3, first 2 shown]
	v_add_f32_e32 v9, v63, v9
	v_fma_f32 v25, 0xbf7ba420, v31, -v133
	v_add_f32_e32 v8, v23, v8
	v_fma_f32 v23, 0x3ee437d1, v30, -v74
	v_add_f32_e32 v24, v43, v36
	v_add_f32_e32 v9, v68, v9
	v_fmac_f32_e32 v69, 0xbf7ee86f, v26
	v_fma_f32 v149, 0x3dbcf732, v70, -v149
	v_add_f32_e32 v8, v23, v8
	v_fma_f32 v23, 0x3dbcf732, v31, -v47
	v_add_f32_e32 v24, v28, v24
	v_mul_f32_e32 v70, 0xbf1a4643, v70
	v_add_f32_e32 v9, v69, v9
	v_fmac_f32_e32 v61, 0xbf763a35, v27
	v_add_f32_e32 v8, v23, v8
	v_fma_f32 v23, 0xbe8c1d8e, v32, -v60
	v_add_f32_e32 v24, v25, v24
	v_fma_f32 v25, 0xbf59a7d5, v32, -v135
	v_fmamk_f32 v136, v20, 0x3f4c4adb, v70
	v_mul_f32_e32 v57, 0xbf59a7d5, v72
	v_fmac_f32_e32 v127, 0x3f763a35, v20
	v_fmac_f32_e32 v70, 0xbf4c4adb, v20
	v_add_f32_e32 v8, v23, v8
	v_fma_f32 v20, 0xbf1a4643, v33, -v58
	v_add_f32_e32 v24, v25, v24
	v_fma_f32 v25, 0xbe8c1d8e, v33, -v130
	v_fma_f32 v40, 0x3f3d2fb0, v33, -v175
	v_add_f32_e32 v9, v61, v9
	v_add_f32_e32 v145, v149, v145
	v_fma_f32 v147, 0x3f6eb680, v72, -v151
	v_add_f32_e32 v78, v136, v116
	v_fmamk_f32 v65, v21, 0x3f06c442, v57
	v_mul_f32_e32 v54, 0xbf7ba420, v107
	v_add_f32_e32 v8, v20, v8
	v_fma_f32 v20, 0xbf59a7d5, v34, -v55
	v_add_f32_e32 v23, v25, v24
	v_fma_f32 v24, 0x3ee437d1, v34, -v137
	;; [unrolled: 2-line block ×3, first 2 shown]
	v_add_f32_e32 v9, v70, v9
	v_fmac_f32_e32 v57, 0xbf06c442, v21
	v_add_f32_e32 v145, v147, v145
	v_fma_f32 v147, 0xbf1a4643, v107, -v153
	v_fmac_f32_e32 v158, 0xbf1a4643, v35
	v_add_f32_e32 v65, v65, v78
	v_fmamk_f32 v51, v22, 0x3e3c28d5, v54
	v_add_f32_e32 v44, v127, v44
	v_fmac_f32_e32 v129, 0x3f65296c, v21
	v_fmac_f32_e32 v132, 0x3eb8f4ab, v22
	v_fmac_f32_e32 v54, 0xbe3c28d5, v22
	v_add_f32_e32 v20, v20, v8
	v_fma_f32 v22, 0xbf7ba420, v35, -v53
	v_add_f32_e32 v21, v24, v23
	v_fma_f32 v23, 0x3f6eb680, v35, -v125
	;; [unrolled: 2-line block ×3, first 2 shown]
	v_add_f32_e32 v24, v57, v9
	v_add_f32_e32 v19, v147, v145
	;; [unrolled: 1-line block ×6, first 2 shown]
	v_add_nc_u32_e32 v22, 0x800, v79
	v_add_f32_e32 v8, v23, v21
	v_add_nc_u32_e32 v23, 0xc00, v79
	v_add_f32_e32 v28, v40, v37
	v_add_f32_e32 v21, v54, v24
	v_add_nc_u32_e32 v24, 0x1000, v79
	v_add_f32_e32 v9, v132, v44
	ds_write_b64 v120, v[38:39]
	ds_write2_b64 v79, v[41:42], v[66:67] offset0:52 offset1:104
	ds_write2_b64 v79, v[114:115], v[112:113] offset0:156 offset1:208
	;; [unrolled: 1-line block ×3, first 2 shown]
	v_add_nc_u32_e32 v16, 0x1800, v79
	ds_write2_b64 v22, v[14:15], v[12:13] offset0:108 offset1:160
	ds_write2_b64 v23, v[10:11], v[6:7] offset0:84 offset1:136
	;; [unrolled: 1-line block ×5, first 2 shown]
.LBB0_17:
	s_or_b32 exec_lo, exec_lo, s1
	s_waitcnt lgkmcnt(0)
	s_barrier
	buffer_gl0_inv
	ds_read2_b64 v[0:3], v120 offset1:68
	v_add_nc_u32_e32 v4, 0x400, v120
	v_mad_u64_u32 v[8:9], null, s10, v80, 0
	v_mad_u64_u32 v[10:11], null, s8, v119, 0
	ds_read2_b64 v[4:7], v4 offset0:8 offset1:144
	s_mov_b32 s0, 0x1288b013
	s_mov_b32 s1, 0x3f5288b0
	s_mul_i32 s3, s9, 0x220
	s_mul_hi_u32 s6, s8, 0x220
	s_mul_i32 s2, s8, 0x220
	s_add_i32 s3, s6, s3
	s_waitcnt lgkmcnt(1)
	v_mul_f32_e32 v14, v98, v1
	v_mul_f32_e32 v12, v98, v0
	;; [unrolled: 1-line block ×4, first 2 shown]
	v_fmac_f32_e32 v14, v97, v0
	v_fma_f32 v0, v97, v1, -v12
	v_fmac_f32_e32 v18, v99, v2
	v_fma_f32 v1, v99, v3, -v13
	s_waitcnt lgkmcnt(0)
	v_mul_f32_e32 v22, v96, v5
	ds_read_b64 v[12:13], v79 offset:1632
	v_cvt_f64_f32_e32 v[16:17], v0
	v_mul_f32_e32 v0, v96, v4
	v_cvt_f64_f32_e32 v[14:15], v14
	v_cvt_f64_f32_e32 v[18:19], v18
	;; [unrolled: 1-line block ×3, first 2 shown]
	v_fmac_f32_e32 v22, v95, v4
	v_fma_f32 v24, v95, v5, -v0
	v_mov_b32_e32 v4, v9
	v_mov_b32_e32 v5, v11
	v_add_nc_u32_e32 v1, 0x800, v120
	v_cvt_f64_f32_e32 v[22:23], v22
	v_cvt_f64_f32_e32 v[24:25], v24
	v_mul_f32_e32 v28, v106, v6
	v_mad_u64_u32 v[26:27], null, s11, v80, v[4:5]
	v_mad_u64_u32 v[4:5], null, s9, v119, v[5:6]
	ds_read2_b64 v[0:3], v1 offset0:84 offset1:152
	v_fma_f32 v28, v105, v7, -v28
	s_waitcnt lgkmcnt(1)
	v_mul_f32_e32 v5, v94, v13
	v_mul_f32_e32 v27, v94, v12
	v_mov_b32_e32 v9, v26
	v_mul_f64 v[16:17], v[16:17], s[0:1]
	v_mov_b32_e32 v11, v4
	v_mul_f64 v[14:15], v[14:15], s[0:1]
	v_mul_f64 v[18:19], v[18:19], s[0:1]
	;; [unrolled: 1-line block ×3, first 2 shown]
	v_fmac_f32_e32 v5, v93, v12
	v_fma_f32 v27, v93, v13, -v27
	v_mul_f32_e32 v26, v106, v7
	v_cvt_f64_f32_e32 v[4:5], v5
	v_mul_f64 v[12:13], v[22:23], s[0:1]
	v_mul_f64 v[22:23], v[24:25], s[0:1]
	v_fmac_f32_e32 v26, v105, v6
	v_lshlrev_b64 v[6:7], 3, v[8:9]
	v_lshlrev_b64 v[8:9], 3, v[10:11]
	v_cvt_f64_f32_e32 v[10:11], v27
	s_waitcnt lgkmcnt(0)
	v_mul_f32_e32 v29, v104, v1
	v_cvt_f64_f32_e32 v[24:25], v26
	v_cvt_f64_f32_e32 v[26:27], v28
	v_add_co_u32 v6, vcc_lo, s4, v6
	v_add_co_ci_u32_e32 v7, vcc_lo, s5, v7, vcc_lo
	v_cvt_f32_f64_e32 v14, v[14:15]
	v_cvt_f32_f64_e32 v15, v[16:17]
	;; [unrolled: 1-line block ×4, first 2 shown]
	v_add_co_u32 v6, vcc_lo, v6, v8
	v_add_co_ci_u32_e32 v7, vcc_lo, v7, v9, vcc_lo
	v_mul_f64 v[8:9], v[4:5], s[0:1]
	v_cvt_f32_f64_e32 v12, v[12:13]
	v_cvt_f32_f64_e32 v13, v[22:23]
	v_add_co_u32 v4, vcc_lo, v6, s2
	v_add_co_ci_u32_e32 v5, vcc_lo, s3, v7, vcc_lo
	v_mul_f32_e32 v28, v104, v0
	v_fmac_f32_e32 v29, v103, v0
	v_mul_f32_e32 v0, v102, v3
	v_add_co_u32 v18, vcc_lo, v4, s2
	global_store_dwordx2 v[6:7], v[14:15], off
	global_store_dwordx2 v[4:5], v[16:17], off
	v_add_nc_u32_e32 v4, 0xc00, v120
	v_mul_f64 v[10:11], v[10:11], s[0:1]
	v_add_co_ci_u32_e32 v19, vcc_lo, s3, v5, vcc_lo
	v_fmac_f32_e32 v0, v101, v2
	ds_read2_b64 v[4:7], v4 offset0:92 offset1:160
	v_mul_f64 v[20:21], v[24:25], s[0:1]
	global_store_dwordx2 v[18:19], v[12:13], off
	v_cvt_f32_f64_e32 v12, v[8:9]
	v_cvt_f64_f32_e32 v[8:9], v0
	v_fma_f32 v1, v103, v1, -v28
	v_mul_f32_e32 v24, v102, v2
	v_add_nc_u32_e32 v0, 0x1000, v120
	v_mul_f64 v[22:23], v[26:27], s[0:1]
	v_cvt_f64_f32_e32 v[14:15], v29
	v_cvt_f64_f32_e32 v[16:17], v1
	v_fma_f32 v1, v101, v3, -v24
	v_add_co_u32 v18, vcc_lo, v18, s2
	v_add_co_ci_u32_e32 v19, vcc_lo, s3, v19, vcc_lo
	v_cvt_f64_f32_e32 v[24:25], v1
	ds_read2_b64 v[0:3], v0 offset0:100 offset1:168
	v_cvt_f32_f64_e32 v13, v[10:11]
	v_add_nc_u32_e32 v11, 0x1400, v120
	s_waitcnt lgkmcnt(1)
	v_mul_f32_e32 v26, v92, v5
	v_mul_f32_e32 v10, v92, v4
	;; [unrolled: 1-line block ×4, first 2 shown]
	v_cvt_f32_f64_e32 v20, v[20:21]
	v_fmac_f32_e32 v26, v91, v4
	v_fma_f32 v28, v91, v5, -v10
	v_mul_f64 v[4:5], v[8:9], s[0:1]
	ds_read2_b64 v[8:11], v11 offset0:108 offset1:176
	v_fmac_f32_e32 v30, v89, v6
	v_cvt_f64_f32_e32 v[26:27], v26
	v_mul_f64 v[14:15], v[14:15], s[0:1]
	v_mul_f64 v[16:17], v[16:17], s[0:1]
	v_cvt_f64_f32_e32 v[28:29], v28
	v_fma_f32 v6, v89, v7, -v31
	v_cvt_f32_f64_e32 v21, v[22:23]
	v_add_co_u32 v22, vcc_lo, v18, s2
	s_waitcnt lgkmcnt(1)
	v_mul_f32_e32 v34, v82, v3
	v_mul_f32_e32 v32, v88, v1
	v_mul_f32_e32 v33, v88, v0
	v_cvt_f64_f32_e32 v[6:7], v6
	v_mul_f64 v[24:25], v[24:25], s[0:1]
	v_fmac_f32_e32 v34, v81, v2
	v_mul_f32_e32 v2, v82, v2
	v_fmac_f32_e32 v32, v87, v0
	v_fma_f32 v33, v87, v1, -v33
	v_cvt_f64_f32_e32 v[0:1], v30
	s_waitcnt lgkmcnt(0)
	v_mul_f32_e32 v36, v84, v9
	v_mul_f32_e32 v37, v84, v8
	;; [unrolled: 1-line block ×4, first 2 shown]
	v_fma_f32 v2, v81, v3, -v2
	v_fmac_f32_e32 v36, v83, v8
	v_fma_f32 v37, v83, v9, -v37
	v_fmac_f32_e32 v38, v85, v10
	v_fma_f32 v39, v85, v11, -v39
	v_cvt_f64_f32_e32 v[30:31], v32
	v_cvt_f64_f32_e32 v[32:33], v33
	;; [unrolled: 1-line block ×8, first 2 shown]
	v_add_co_ci_u32_e32 v23, vcc_lo, s3, v19, vcc_lo
	global_store_dwordx2 v[18:19], v[12:13], off
	global_store_dwordx2 v[22:23], v[20:21], off
	v_cvt_f32_f64_e32 v12, v[14:15]
	v_cvt_f32_f64_e32 v13, v[16:17]
	v_mul_f64 v[14:15], v[26:27], s[0:1]
	v_mul_f64 v[16:17], v[28:29], s[0:1]
	v_add_co_u32 v18, vcc_lo, v22, s2
	v_mul_f64 v[0:1], v[0:1], s[0:1]
	v_mul_f64 v[6:7], v[6:7], s[0:1]
	v_add_co_ci_u32_e32 v19, vcc_lo, s3, v23, vcc_lo
	v_mul_f64 v[20:21], v[30:31], s[0:1]
	v_mul_f64 v[22:23], v[32:33], s[0:1]
	v_cvt_f32_f64_e32 v4, v[4:5]
	v_cvt_f32_f64_e32 v5, v[24:25]
	v_mul_f64 v[24:25], v[34:35], s[0:1]
	v_mul_f64 v[2:3], v[2:3], s[0:1]
	;; [unrolled: 1-line block ×6, first 2 shown]
	v_add_co_u32 v30, vcc_lo, v18, s2
	v_add_co_ci_u32_e32 v31, vcc_lo, s3, v19, vcc_lo
	v_cvt_f32_f64_e32 v14, v[14:15]
	v_cvt_f32_f64_e32 v15, v[16:17]
	v_add_co_u32 v16, vcc_lo, v30, s2
	v_add_co_ci_u32_e32 v17, vcc_lo, s3, v31, vcc_lo
	v_cvt_f32_f64_e32 v0, v[0:1]
	v_cvt_f32_f64_e32 v1, v[6:7]
	;; [unrolled: 4-line block ×3, first 2 shown]
	v_cvt_f32_f64_e32 v22, v[24:25]
	v_cvt_f32_f64_e32 v23, v[2:3]
	;; [unrolled: 1-line block ×6, first 2 shown]
	v_add_co_u32 v10, vcc_lo, v6, s2
	v_add_co_ci_u32_e32 v11, vcc_lo, s3, v7, vcc_lo
	global_store_dwordx2 v[18:19], v[12:13], off
	v_add_co_u32 v12, vcc_lo, v10, s2
	v_add_co_ci_u32_e32 v13, vcc_lo, s3, v11, vcc_lo
	global_store_dwordx2 v[30:31], v[4:5], off
	;; [unrolled: 3-line block ×4, first 2 shown]
	global_store_dwordx2 v[10:11], v[20:21], off
	global_store_dwordx2 v[12:13], v[22:23], off
	;; [unrolled: 1-line block ×4, first 2 shown]
.LBB0_18:
	s_endpgm
	.section	.rodata,"a",@progbits
	.p2align	6, 0x0
	.amdhsa_kernel bluestein_single_fwd_len884_dim1_sp_op_CI_CI
		.amdhsa_group_segment_fixed_size 21216
		.amdhsa_private_segment_fixed_size 140
		.amdhsa_kernarg_size 104
		.amdhsa_user_sgpr_count 6
		.amdhsa_user_sgpr_private_segment_buffer 1
		.amdhsa_user_sgpr_dispatch_ptr 0
		.amdhsa_user_sgpr_queue_ptr 0
		.amdhsa_user_sgpr_kernarg_segment_ptr 1
		.amdhsa_user_sgpr_dispatch_id 0
		.amdhsa_user_sgpr_flat_scratch_init 0
		.amdhsa_user_sgpr_private_segment_size 0
		.amdhsa_wavefront_size32 1
		.amdhsa_uses_dynamic_stack 0
		.amdhsa_system_sgpr_private_segment_wavefront_offset 1
		.amdhsa_system_sgpr_workgroup_id_x 1
		.amdhsa_system_sgpr_workgroup_id_y 0
		.amdhsa_system_sgpr_workgroup_id_z 0
		.amdhsa_system_sgpr_workgroup_info 0
		.amdhsa_system_vgpr_workitem_id 0
		.amdhsa_next_free_vgpr 256
		.amdhsa_next_free_sgpr 24
		.amdhsa_reserve_vcc 1
		.amdhsa_reserve_flat_scratch 0
		.amdhsa_float_round_mode_32 0
		.amdhsa_float_round_mode_16_64 0
		.amdhsa_float_denorm_mode_32 3
		.amdhsa_float_denorm_mode_16_64 3
		.amdhsa_dx10_clamp 1
		.amdhsa_ieee_mode 1
		.amdhsa_fp16_overflow 0
		.amdhsa_workgroup_processor_mode 1
		.amdhsa_memory_ordered 1
		.amdhsa_forward_progress 0
		.amdhsa_shared_vgpr_count 0
		.amdhsa_exception_fp_ieee_invalid_op 0
		.amdhsa_exception_fp_denorm_src 0
		.amdhsa_exception_fp_ieee_div_zero 0
		.amdhsa_exception_fp_ieee_overflow 0
		.amdhsa_exception_fp_ieee_underflow 0
		.amdhsa_exception_fp_ieee_inexact 0
		.amdhsa_exception_int_div_zero 0
	.end_amdhsa_kernel
	.text
.Lfunc_end0:
	.size	bluestein_single_fwd_len884_dim1_sp_op_CI_CI, .Lfunc_end0-bluestein_single_fwd_len884_dim1_sp_op_CI_CI
                                        ; -- End function
	.section	.AMDGPU.csdata,"",@progbits
; Kernel info:
; codeLenInByte = 22604
; NumSgprs: 26
; NumVgprs: 256
; ScratchSize: 140
; MemoryBound: 0
; FloatMode: 240
; IeeeMode: 1
; LDSByteSize: 21216 bytes/workgroup (compile time only)
; SGPRBlocks: 3
; VGPRBlocks: 31
; NumSGPRsForWavesPerEU: 26
; NumVGPRsForWavesPerEU: 256
; Occupancy: 4
; WaveLimiterHint : 1
; COMPUTE_PGM_RSRC2:SCRATCH_EN: 1
; COMPUTE_PGM_RSRC2:USER_SGPR: 6
; COMPUTE_PGM_RSRC2:TRAP_HANDLER: 0
; COMPUTE_PGM_RSRC2:TGID_X_EN: 1
; COMPUTE_PGM_RSRC2:TGID_Y_EN: 0
; COMPUTE_PGM_RSRC2:TGID_Z_EN: 0
; COMPUTE_PGM_RSRC2:TIDIG_COMP_CNT: 0
	.text
	.p2alignl 6, 3214868480
	.fill 48, 4, 3214868480
	.type	__hip_cuid_997e014fc51bfaa8,@object ; @__hip_cuid_997e014fc51bfaa8
	.section	.bss,"aw",@nobits
	.globl	__hip_cuid_997e014fc51bfaa8
__hip_cuid_997e014fc51bfaa8:
	.byte	0                               ; 0x0
	.size	__hip_cuid_997e014fc51bfaa8, 1

	.ident	"AMD clang version 19.0.0git (https://github.com/RadeonOpenCompute/llvm-project roc-6.4.0 25133 c7fe45cf4b819c5991fe208aaa96edf142730f1d)"
	.section	".note.GNU-stack","",@progbits
	.addrsig
	.addrsig_sym __hip_cuid_997e014fc51bfaa8
	.amdgpu_metadata
---
amdhsa.kernels:
  - .args:
      - .actual_access:  read_only
        .address_space:  global
        .offset:         0
        .size:           8
        .value_kind:     global_buffer
      - .actual_access:  read_only
        .address_space:  global
        .offset:         8
        .size:           8
        .value_kind:     global_buffer
      - .actual_access:  read_only
        .address_space:  global
        .offset:         16
        .size:           8
        .value_kind:     global_buffer
      - .actual_access:  read_only
        .address_space:  global
        .offset:         24
        .size:           8
        .value_kind:     global_buffer
      - .actual_access:  read_only
        .address_space:  global
        .offset:         32
        .size:           8
        .value_kind:     global_buffer
      - .offset:         40
        .size:           8
        .value_kind:     by_value
      - .address_space:  global
        .offset:         48
        .size:           8
        .value_kind:     global_buffer
      - .address_space:  global
        .offset:         56
        .size:           8
        .value_kind:     global_buffer
      - .address_space:  global
        .offset:         64
        .size:           8
        .value_kind:     global_buffer
      - .address_space:  global
        .offset:         72
        .size:           8
        .value_kind:     global_buffer
      - .offset:         80
        .size:           4
        .value_kind:     by_value
      - .address_space:  global
        .offset:         88
        .size:           8
        .value_kind:     global_buffer
      - .address_space:  global
        .offset:         96
        .size:           8
        .value_kind:     global_buffer
    .group_segment_fixed_size: 21216
    .kernarg_segment_align: 8
    .kernarg_segment_size: 104
    .language:       OpenCL C
    .language_version:
      - 2
      - 0
    .max_flat_workgroup_size: 204
    .name:           bluestein_single_fwd_len884_dim1_sp_op_CI_CI
    .private_segment_fixed_size: 140
    .sgpr_count:     26
    .sgpr_spill_count: 0
    .symbol:         bluestein_single_fwd_len884_dim1_sp_op_CI_CI.kd
    .uniform_work_group_size: 1
    .uses_dynamic_stack: false
    .vgpr_count:     256
    .vgpr_spill_count: 34
    .wavefront_size: 32
    .workgroup_processor_mode: 1
amdhsa.target:   amdgcn-amd-amdhsa--gfx1030
amdhsa.version:
  - 1
  - 2
...

	.end_amdgpu_metadata
